;; amdgpu-corpus repo=ROCm/rocFFT kind=compiled arch=gfx1030 opt=O3
	.text
	.amdgcn_target "amdgcn-amd-amdhsa--gfx1030"
	.amdhsa_code_object_version 6
	.protected	fft_rtc_back_len1428_factors_17_2_7_6_wgs_119_tpt_119_halfLds_half_ip_CI_unitstride_sbrr_R2C_dirReg ; -- Begin function fft_rtc_back_len1428_factors_17_2_7_6_wgs_119_tpt_119_halfLds_half_ip_CI_unitstride_sbrr_R2C_dirReg
	.globl	fft_rtc_back_len1428_factors_17_2_7_6_wgs_119_tpt_119_halfLds_half_ip_CI_unitstride_sbrr_R2C_dirReg
	.p2align	8
	.type	fft_rtc_back_len1428_factors_17_2_7_6_wgs_119_tpt_119_halfLds_half_ip_CI_unitstride_sbrr_R2C_dirReg,@function
fft_rtc_back_len1428_factors_17_2_7_6_wgs_119_tpt_119_halfLds_half_ip_CI_unitstride_sbrr_R2C_dirReg: ; @fft_rtc_back_len1428_factors_17_2_7_6_wgs_119_tpt_119_halfLds_half_ip_CI_unitstride_sbrr_R2C_dirReg
; %bb.0:
	s_clause 0x2
	s_load_dwordx4 s[8:11], s[4:5], 0x0
	s_load_dwordx2 s[2:3], s[4:5], 0x50
	s_load_dwordx2 s[12:13], s[4:5], 0x18
	v_mul_u32_u24_e32 v1, 0x227, v0
	v_mov_b32_e32 v3, 0
	v_add_nc_u32_sdwa v5, s6, v1 dst_sel:DWORD dst_unused:UNUSED_PAD src0_sel:DWORD src1_sel:WORD_1
	v_mov_b32_e32 v1, 0
	v_mov_b32_e32 v6, v3
	v_mov_b32_e32 v2, 0
	s_waitcnt lgkmcnt(0)
	v_cmp_lt_u64_e64 s0, s[10:11], 2
	s_and_b32 vcc_lo, exec_lo, s0
	s_cbranch_vccnz .LBB0_8
; %bb.1:
	s_load_dwordx2 s[0:1], s[4:5], 0x10
	v_mov_b32_e32 v1, 0
	s_add_u32 s6, s12, 8
	v_mov_b32_e32 v2, 0
	s_addc_u32 s7, s13, 0
	s_mov_b64 s[16:17], 1
	s_waitcnt lgkmcnt(0)
	s_add_u32 s14, s0, 8
	s_addc_u32 s15, s1, 0
.LBB0_2:                                ; =>This Inner Loop Header: Depth=1
	s_load_dwordx2 s[18:19], s[14:15], 0x0
                                        ; implicit-def: $vgpr7_vgpr8
	s_mov_b32 s0, exec_lo
	s_waitcnt lgkmcnt(0)
	v_or_b32_e32 v4, s19, v6
	v_cmpx_ne_u64_e32 0, v[3:4]
	s_xor_b32 s1, exec_lo, s0
	s_cbranch_execz .LBB0_4
; %bb.3:                                ;   in Loop: Header=BB0_2 Depth=1
	v_cvt_f32_u32_e32 v4, s18
	v_cvt_f32_u32_e32 v7, s19
	s_sub_u32 s0, 0, s18
	s_subb_u32 s20, 0, s19
	v_fmac_f32_e32 v4, 0x4f800000, v7
	v_rcp_f32_e32 v4, v4
	v_mul_f32_e32 v4, 0x5f7ffffc, v4
	v_mul_f32_e32 v7, 0x2f800000, v4
	v_trunc_f32_e32 v7, v7
	v_fmac_f32_e32 v4, 0xcf800000, v7
	v_cvt_u32_f32_e32 v7, v7
	v_cvt_u32_f32_e32 v4, v4
	v_mul_lo_u32 v8, s0, v7
	v_mul_hi_u32 v9, s0, v4
	v_mul_lo_u32 v10, s20, v4
	v_add_nc_u32_e32 v8, v9, v8
	v_mul_lo_u32 v9, s0, v4
	v_add_nc_u32_e32 v8, v8, v10
	v_mul_hi_u32 v10, v4, v9
	v_mul_lo_u32 v11, v4, v8
	v_mul_hi_u32 v12, v4, v8
	v_mul_hi_u32 v13, v7, v9
	v_mul_lo_u32 v9, v7, v9
	v_mul_hi_u32 v14, v7, v8
	v_mul_lo_u32 v8, v7, v8
	v_add_co_u32 v10, vcc_lo, v10, v11
	v_add_co_ci_u32_e32 v11, vcc_lo, 0, v12, vcc_lo
	v_add_co_u32 v9, vcc_lo, v10, v9
	v_add_co_ci_u32_e32 v9, vcc_lo, v11, v13, vcc_lo
	v_add_co_ci_u32_e32 v10, vcc_lo, 0, v14, vcc_lo
	v_add_co_u32 v8, vcc_lo, v9, v8
	v_add_co_ci_u32_e32 v9, vcc_lo, 0, v10, vcc_lo
	v_add_co_u32 v4, vcc_lo, v4, v8
	v_add_co_ci_u32_e32 v7, vcc_lo, v7, v9, vcc_lo
	v_mul_hi_u32 v8, s0, v4
	v_mul_lo_u32 v10, s20, v4
	v_mul_lo_u32 v9, s0, v7
	v_add_nc_u32_e32 v8, v8, v9
	v_mul_lo_u32 v9, s0, v4
	v_add_nc_u32_e32 v8, v8, v10
	v_mul_hi_u32 v10, v4, v9
	v_mul_lo_u32 v11, v4, v8
	v_mul_hi_u32 v12, v4, v8
	v_mul_hi_u32 v13, v7, v9
	v_mul_lo_u32 v9, v7, v9
	v_mul_hi_u32 v14, v7, v8
	v_mul_lo_u32 v8, v7, v8
	v_add_co_u32 v10, vcc_lo, v10, v11
	v_add_co_ci_u32_e32 v11, vcc_lo, 0, v12, vcc_lo
	v_add_co_u32 v9, vcc_lo, v10, v9
	v_add_co_ci_u32_e32 v9, vcc_lo, v11, v13, vcc_lo
	v_add_co_ci_u32_e32 v10, vcc_lo, 0, v14, vcc_lo
	v_add_co_u32 v8, vcc_lo, v9, v8
	v_add_co_ci_u32_e32 v9, vcc_lo, 0, v10, vcc_lo
	v_add_co_u32 v4, vcc_lo, v4, v8
	v_add_co_ci_u32_e32 v11, vcc_lo, v7, v9, vcc_lo
	v_mul_hi_u32 v13, v5, v4
	v_mad_u64_u32 v[9:10], null, v6, v4, 0
	v_mad_u64_u32 v[7:8], null, v5, v11, 0
	;; [unrolled: 1-line block ×3, first 2 shown]
	v_add_co_u32 v4, vcc_lo, v13, v7
	v_add_co_ci_u32_e32 v7, vcc_lo, 0, v8, vcc_lo
	v_add_co_u32 v4, vcc_lo, v4, v9
	v_add_co_ci_u32_e32 v4, vcc_lo, v7, v10, vcc_lo
	v_add_co_ci_u32_e32 v7, vcc_lo, 0, v12, vcc_lo
	v_add_co_u32 v4, vcc_lo, v4, v11
	v_add_co_ci_u32_e32 v9, vcc_lo, 0, v7, vcc_lo
	v_mul_lo_u32 v10, s19, v4
	v_mad_u64_u32 v[7:8], null, s18, v4, 0
	v_mul_lo_u32 v11, s18, v9
	v_sub_co_u32 v7, vcc_lo, v5, v7
	v_add3_u32 v8, v8, v11, v10
	v_sub_nc_u32_e32 v10, v6, v8
	v_subrev_co_ci_u32_e64 v10, s0, s19, v10, vcc_lo
	v_add_co_u32 v11, s0, v4, 2
	v_add_co_ci_u32_e64 v12, s0, 0, v9, s0
	v_sub_co_u32 v13, s0, v7, s18
	v_sub_co_ci_u32_e32 v8, vcc_lo, v6, v8, vcc_lo
	v_subrev_co_ci_u32_e64 v10, s0, 0, v10, s0
	v_cmp_le_u32_e32 vcc_lo, s18, v13
	v_cmp_eq_u32_e64 s0, s19, v8
	v_cndmask_b32_e64 v13, 0, -1, vcc_lo
	v_cmp_le_u32_e32 vcc_lo, s19, v10
	v_cndmask_b32_e64 v14, 0, -1, vcc_lo
	v_cmp_le_u32_e32 vcc_lo, s18, v7
	;; [unrolled: 2-line block ×3, first 2 shown]
	v_cndmask_b32_e64 v15, 0, -1, vcc_lo
	v_cmp_eq_u32_e32 vcc_lo, s19, v10
	v_cndmask_b32_e64 v7, v15, v7, s0
	v_cndmask_b32_e32 v10, v14, v13, vcc_lo
	v_add_co_u32 v13, vcc_lo, v4, 1
	v_add_co_ci_u32_e32 v14, vcc_lo, 0, v9, vcc_lo
	v_cmp_ne_u32_e32 vcc_lo, 0, v10
	v_cndmask_b32_e32 v8, v14, v12, vcc_lo
	v_cndmask_b32_e32 v10, v13, v11, vcc_lo
	v_cmp_ne_u32_e32 vcc_lo, 0, v7
	v_cndmask_b32_e32 v8, v9, v8, vcc_lo
	v_cndmask_b32_e32 v7, v4, v10, vcc_lo
.LBB0_4:                                ;   in Loop: Header=BB0_2 Depth=1
	s_andn2_saveexec_b32 s0, s1
	s_cbranch_execz .LBB0_6
; %bb.5:                                ;   in Loop: Header=BB0_2 Depth=1
	v_cvt_f32_u32_e32 v4, s18
	s_sub_i32 s1, 0, s18
	v_rcp_iflag_f32_e32 v4, v4
	v_mul_f32_e32 v4, 0x4f7ffffe, v4
	v_cvt_u32_f32_e32 v4, v4
	v_mul_lo_u32 v7, s1, v4
	v_mul_hi_u32 v7, v4, v7
	v_add_nc_u32_e32 v4, v4, v7
	v_mul_hi_u32 v4, v5, v4
	v_mul_lo_u32 v7, v4, s18
	v_add_nc_u32_e32 v8, 1, v4
	v_sub_nc_u32_e32 v7, v5, v7
	v_subrev_nc_u32_e32 v9, s18, v7
	v_cmp_le_u32_e32 vcc_lo, s18, v7
	v_cndmask_b32_e32 v7, v7, v9, vcc_lo
	v_cndmask_b32_e32 v4, v4, v8, vcc_lo
	v_cmp_le_u32_e32 vcc_lo, s18, v7
	v_add_nc_u32_e32 v8, 1, v4
	v_cndmask_b32_e32 v7, v4, v8, vcc_lo
	v_mov_b32_e32 v8, v3
.LBB0_6:                                ;   in Loop: Header=BB0_2 Depth=1
	s_or_b32 exec_lo, exec_lo, s0
	s_load_dwordx2 s[0:1], s[6:7], 0x0
	v_mul_lo_u32 v4, v8, s18
	v_mul_lo_u32 v11, v7, s19
	v_mad_u64_u32 v[9:10], null, v7, s18, 0
	s_add_u32 s16, s16, 1
	s_addc_u32 s17, s17, 0
	s_add_u32 s6, s6, 8
	s_addc_u32 s7, s7, 0
	;; [unrolled: 2-line block ×3, first 2 shown]
	v_add3_u32 v4, v10, v11, v4
	v_sub_co_u32 v5, vcc_lo, v5, v9
	v_sub_co_ci_u32_e32 v4, vcc_lo, v6, v4, vcc_lo
	s_waitcnt lgkmcnt(0)
	v_mul_lo_u32 v6, s1, v5
	v_mul_lo_u32 v4, s0, v4
	v_mad_u64_u32 v[1:2], null, s0, v5, v[1:2]
	v_cmp_ge_u64_e64 s0, s[16:17], s[10:11]
	s_and_b32 vcc_lo, exec_lo, s0
	v_add3_u32 v2, v6, v2, v4
	s_cbranch_vccnz .LBB0_9
; %bb.7:                                ;   in Loop: Header=BB0_2 Depth=1
	v_mov_b32_e32 v5, v7
	v_mov_b32_e32 v6, v8
	s_branch .LBB0_2
.LBB0_8:
	v_mov_b32_e32 v8, v6
	v_mov_b32_e32 v7, v5
.LBB0_9:
	s_lshl_b64 s[0:1], s[10:11], 3
	v_mul_hi_u32 v3, 0x226b903, v0
	s_add_u32 s0, s12, s0
	s_addc_u32 s1, s13, s1
	s_load_dwordx2 s[0:1], s[0:1], 0x0
	s_load_dwordx2 s[4:5], s[4:5], 0x20
	v_mul_u32_u24_e32 v3, 0x77, v3
	v_sub_nc_u32_e32 v0, v0, v3
	v_lshl_add_u32 v22, v0, 2, 0
	s_waitcnt lgkmcnt(0)
	v_mul_lo_u32 v4, s0, v8
	v_mul_lo_u32 v5, s1, v7
	v_mad_u64_u32 v[1:2], null, s0, v7, v[1:2]
	v_cmp_gt_u64_e32 vcc_lo, s[4:5], v[7:8]
	v_add3_u32 v2, v5, v2, v4
	v_lshlrev_b64 v[2:3], 2, v[1:2]
	s_and_saveexec_b32 s1, vcc_lo
	s_cbranch_execz .LBB0_11
; %bb.10:
	v_mov_b32_e32 v1, 0
	v_add_nc_u32_e32 v16, 0x600, v22
	v_add_nc_u32_e32 v17, 0xa00, v22
	;; [unrolled: 1-line block ×4, first 2 shown]
	v_lshlrev_b64 v[4:5], 2, v[0:1]
	v_add_co_u32 v1, s0, s2, v2
	v_add_co_ci_u32_e64 v6, s0, s3, v3, s0
	v_add_co_u32 v4, s0, v1, v4
	v_add_co_ci_u32_e64 v5, s0, v6, v5, s0
	;; [unrolled: 2-line block ×4, first 2 shown]
	s_clause 0xb
	global_load_dword v1, v[4:5], off
	global_load_dword v10, v[4:5], off offset:476
	global_load_dword v11, v[4:5], off offset:952
	;; [unrolled: 1-line block ×11, first 2 shown]
	v_add_nc_u32_e32 v9, 0x200, v22
	s_waitcnt vmcnt(10)
	ds_write2_b32 v22, v1, v10 offset1:119
	s_waitcnt vmcnt(8)
	ds_write2_b32 v9, v11, v12 offset0:110 offset1:229
	s_waitcnt vmcnt(6)
	ds_write2_b32 v16, v4, v5 offset0:92 offset1:211
	;; [unrolled: 2-line block ×5, first 2 shown]
.LBB0_11:
	s_or_b32 exec_lo, exec_lo, s1
	s_waitcnt lgkmcnt(0)
	s_barrier
	buffer_gl0_inv
	ds_read2_b32 v[6:7], v22 offset1:84
	ds_read_b32 v29, v22 offset:5376
	v_add_nc_u32_e32 v1, 0x1000, v22
	ds_read2_b32 v[14:15], v22 offset0:168 offset1:252
	ds_read2_b32 v[8:9], v1 offset0:152 offset1:236
	v_add_nc_u32_e32 v4, 0xe00, v22
	v_mov_b32_e32 v44, 0xbbf7
	v_add_nc_u32_e32 v1, 0x400, v22
	v_mov_b32_e32 v45, 0xb1e1
	ds_read2_b32 v[10:11], v4 offset0:112 offset1:196
	ds_read2_b32 v[16:17], v1 offset0:80 offset1:164
	v_mov_b32_e32 v57, 0xbbb2
	v_mov_b32_e32 v46, 0x3836
	;; [unrolled: 1-line block ×5, first 2 shown]
	v_add_nc_u32_e32 v26, 0x600, v22
	v_mov_b32_e32 v68, 0xbb29
	s_waitcnt lgkmcnt(4)
	v_pk_add_f16 v30, v7, v29 neg_lo:[0,1] neg_hi:[0,1]
	v_pk_add_f16 v32, v29, v7
	v_add_nc_u32_e32 v25, 0xc00, v22
	v_mov_b32_e32 v60, 0xb836
	v_mov_b32_e32 v50, 0x3bf7
	v_mul_f16_sdwa v62, v30, v44 dst_sel:DWORD dst_unused:UNUSED_PAD src0_sel:WORD_1 src1_sel:DWORD
	v_lshrrev_b32_e32 v52, 16, v32
	s_waitcnt lgkmcnt(2)
	v_pk_add_f16 v34, v9, v14
	v_pk_add_f16 v28, v14, v9 neg_lo:[0,1] neg_hi:[0,1]
	v_mul_f16_sdwa v71, v30, v57 dst_sel:DWORD dst_unused:UNUSED_PAD src0_sel:WORD_1 src1_sel:DWORD
	v_fma_f16 v1, v32, 0x2de8, -v62
	v_mul_f16_e32 v67, 0x2de8, v52
	v_lshrrev_b32_e32 v49, 16, v34
	v_mul_f16_sdwa v63, v28, v45 dst_sel:DWORD dst_unused:UNUSED_PAD src0_sel:WORD_1 src1_sel:DWORD
	v_pk_add_f16 v33, v8, v15
	v_mul_f16_e32 v79, 0xb461, v52
	v_add_f16_e32 v1, v6, v1
	v_fmamk_f16 v12, v30, 0xbbf7, v67
	v_fma_f16 v18, v34, 0xbbdd, -v63
	v_mul_f16_e32 v69, 0xbbdd, v49
	v_pk_add_f16 v27, v15, v8 neg_lo:[0,1] neg_hi:[0,1]
	v_fma_f16 v5, v32, 0xb461, -v71
	v_fmamk_f16 v13, v30, 0xbbb2, v79
	v_add_f16_sdwa v12, v6, v12 dst_sel:DWORD dst_unused:UNUSED_PAD src0_sel:WORD_1 src1_sel:DWORD
	v_add_f16_e32 v1, v18, v1
	v_mul_f16_sdwa v73, v28, v46 dst_sel:DWORD dst_unused:UNUSED_PAD src0_sel:WORD_1 src1_sel:DWORD
	v_fmamk_f16 v18, v28, 0xb1e1, v69
	v_mul_f16_e32 v82, 0xbacd, v49
	v_lshrrev_b32_e32 v51, 16, v33
	v_add_f16_e32 v5, v6, v5
	v_add_f16_sdwa v13, v6, v13 dst_sel:DWORD dst_unused:UNUSED_PAD src0_sel:WORD_1 src1_sel:DWORD
	v_mul_f16_sdwa v64, v27, v47 dst_sel:DWORD dst_unused:UNUSED_PAD src0_sel:WORD_1 src1_sel:DWORD
	v_fma_f16 v19, v34, 0xbacd, -v73
	v_add_f16_e32 v12, v18, v12
	v_fmamk_f16 v18, v28, 0x3836, v82
	v_mul_f16_e32 v66, 0xb461, v51
	s_waitcnt lgkmcnt(0)
	v_pk_add_f16 v37, v11, v16
	v_mul_f16_sdwa v77, v27, v56 dst_sel:DWORD dst_unused:UNUSED_PAD src0_sel:WORD_1 src1_sel:DWORD
	v_pk_add_f16 v31, v16, v11 neg_lo:[0,1] neg_hi:[0,1]
	v_fma_f16 v20, v33, 0xb461, -v64
	v_add_f16_e32 v5, v19, v5
	v_add_f16_e32 v21, v18, v13
	v_fmamk_f16 v13, v27, 0x3bb2, v66
	v_mul_f16_e32 v85, 0x39e9, v51
	v_lshrrev_b32_e32 v54, 16, v37
	v_fma_f16 v23, v33, 0x39e9, -v77
	v_mul_f16_sdwa v70, v31, v48 dst_sel:DWORD dst_unused:UNUSED_PAD src0_sel:WORD_1 src1_sel:DWORD
	v_pk_add_f16 v40, v10, v17
	v_add_f16_e32 v1, v20, v1
	v_add_f16_e32 v20, v13, v12
	v_fmamk_f16 v24, v27, 0x3964, v85
	v_mul_f16_e32 v76, 0x3b76, v54
	ds_read2_b32 v[18:19], v26 offset0:120 offset1:204
	ds_read2_b32 v[12:13], v25 offset0:72 offset1:156
	v_add_f16_e32 v5, v23, v5
	v_fma_f16 v23, v37, 0x3b76, -v70
	v_pk_add_f16 v35, v17, v10 neg_lo:[0,1] neg_hi:[0,1]
	v_mul_f16_sdwa v86, v31, v68 dst_sel:DWORD dst_unused:UNUSED_PAD src0_sel:WORD_1 src1_sel:DWORD
	v_lshrrev_b32_e32 v58, 16, v40
	v_add_f16_e32 v21, v24, v21
	v_fmamk_f16 v24, v31, 0x35c8, v76
	v_mul_f16_e32 v93, 0x3722, v54
	v_add_f16_e32 v1, v23, v1
	v_fma_f16 v23, v37, 0x3722, -v86
	v_mul_f16_e32 v80, 0x3722, v58
	v_mul_f16_sdwa v84, v35, v45 dst_sel:DWORD dst_unused:UNUSED_PAD src0_sel:WORD_1 src1_sel:DWORD
	v_fmamk_f16 v36, v31, 0xbb29, v93
	v_add_f16_e32 v20, v24, v20
	v_add_f16_e32 v5, v23, v5
	v_fmamk_f16 v23, v35, 0xbb29, v80
	v_mul_f16_e32 v94, 0xbbdd, v58
	v_fma_f16 v24, v40, 0xbbdd, -v84
	v_add_f16_e32 v21, v36, v21
	v_mul_f16_sdwa v78, v35, v68 dst_sel:DWORD dst_unused:UNUSED_PAD src0_sel:WORD_1 src1_sel:DWORD
	v_add_f16_e32 v23, v23, v20
	v_fmamk_f16 v20, v35, 0xb1e1, v94
	v_add_f16_e32 v5, v24, v5
	v_add_nc_u32_e32 v24, 0x800, v22
	s_waitcnt lgkmcnt(0)
	v_pk_add_f16 v36, v18, v13 neg_lo:[0,1] neg_hi:[0,1]
	v_pk_add_f16 v41, v13, v18
	v_add_f16_e32 v39, v20, v21
	v_fma_f16 v38, v40, 0x3722, -v78
	ds_read2_b32 v[20:21], v24 offset0:160 offset1:244
	v_mul_f16_sdwa v81, v36, v60 dst_sel:DWORD dst_unused:UNUSED_PAD src0_sel:WORD_1 src1_sel:DWORD
	v_lshrrev_b32_e32 v59, 16, v41
	v_pk_add_f16 v43, v12, v19
	v_add_f16_e32 v1, v38, v1
	v_mov_b32_e32 v53, 0x3a62
	v_fma_f16 v38, v41, 0xbacd, -v81
	v_mul_f16_e32 v87, 0xbacd, v59
	v_mul_f16_e32 v98, 0x2de8, v59
	v_mul_f16_sdwa v90, v36, v50 dst_sel:DWORD dst_unused:UNUSED_PAD src0_sel:WORD_1 src1_sel:DWORD
	v_lshrrev_b32_e32 v61, 16, v43
	v_add_f16_e32 v1, v38, v1
	v_fmamk_f16 v24, v36, 0xb836, v87
	v_pk_add_f16 v38, v19, v12 neg_lo:[0,1] neg_hi:[0,1]
	v_fmamk_f16 v42, v36, 0x3bf7, v98
	v_mov_b32_e32 v75, 0xb5c8
	v_mul_f16_e32 v89, 0xb8d2, v61
	v_add_f16_e32 v23, v24, v23
	v_mul_f16_sdwa v88, v38, v53 dst_sel:DWORD dst_unused:UNUSED_PAD src0_sel:WORD_1 src1_sel:DWORD
	v_fma_f16 v24, v41, 0x2de8, -v90
	v_add_f16_e32 v74, v42, v39
	s_waitcnt lgkmcnt(0)
	v_pk_add_f16 v42, v21, v20
	v_mul_f16_sdwa v91, v38, v75 dst_sel:DWORD dst_unused:UNUSED_PAD src0_sel:WORD_1 src1_sel:DWORD
	v_fma_f16 v55, v43, 0xb8d2, -v88
	v_add_f16_e32 v5, v24, v5
	v_fmamk_f16 v24, v38, 0x3a62, v89
	v_mul_f16_e32 v99, 0x3b76, v61
	v_pk_add_f16 v39, v20, v21 neg_lo:[0,1] neg_hi:[0,1]
	v_lshrrev_b32_e32 v65, 16, v42
	v_mov_b32_e32 v72, 0xba62
	v_add_f16_e32 v1, v55, v1
	v_fma_f16 v55, v43, 0x3b76, -v91
	v_add_f16_e32 v23, v24, v23
	v_fmamk_f16 v24, v38, 0xb5c8, v99
	v_mul_f16_sdwa v92, v39, v56 dst_sel:DWORD dst_unused:UNUSED_PAD src0_sel:WORD_1 src1_sel:DWORD
	v_mul_f16_e32 v95, 0x39e9, v65
	v_mul_f16_e32 v97, 0xb8d2, v65
	v_mul_f16_sdwa v96, v39, v72 dst_sel:DWORD dst_unused:UNUSED_PAD src0_sel:WORD_1 src1_sel:DWORD
	v_add_f16_e32 v5, v55, v5
	v_add_f16_e32 v24, v24, v74
	v_fma_f16 v55, v42, 0x39e9, -v92
	v_fmamk_f16 v74, v39, 0x3964, v95
	v_fmamk_f16 v83, v39, 0xba62, v97
	v_fma_f16 v100, v42, 0xb8d2, -v96
	s_mov_b32 s1, exec_lo
	v_add_f16_e32 v1, v55, v1
	v_add_f16_e32 v23, v74, v23
	;; [unrolled: 1-line block ×4, first 2 shown]
	s_barrier
	buffer_gl0_inv
	v_cmpx_gt_u32_e32 0x54, v0
	s_cbranch_execz .LBB0_13
; %bb.12:
	v_mul_f16_e32 v74, 0xba62, v30
	v_mul_f16_e32 v83, 0x3bb2, v28
	v_mul_f16_sdwa v100, v30, v72 dst_sel:DWORD dst_unused:UNUSED_PAD src0_sel:WORD_1 src1_sel:DWORD
	v_mul_f16_e32 v101, 0xb5c8, v27
	v_mul_f16_sdwa v103, v28, v47 dst_sel:DWORD dst_unused:UNUSED_PAD src0_sel:WORD_1 src1_sel:DWORD
	v_fmamk_f16 v55, v52, 0xb8d2, v74
	v_fmamk_f16 v106, v49, 0xb461, v83
	v_fma_f16 v105, v32, 0xb8d2, -v100
	v_mul_f16_e32 v102, 0xb836, v31
	v_mul_f16_sdwa v104, v27, v75 dst_sel:DWORD dst_unused:UNUSED_PAD src0_sel:WORD_1 src1_sel:DWORD
	v_add_f16_sdwa v55, v6, v55 dst_sel:DWORD dst_unused:UNUSED_PAD src0_sel:WORD_1 src1_sel:DWORD
	v_fma_f16 v108, v34, 0xb461, -v103
	v_fmamk_f16 v109, v51, 0x3b76, v101
	v_add_f16_e32 v105, v6, v105
	v_mul_f16_sdwa v107, v31, v60 dst_sel:DWORD dst_unused:UNUSED_PAD src0_sel:WORD_1 src1_sel:DWORD
	v_add_f16_e32 v55, v106, v55
	v_mul_f16_e32 v106, 0x3bf7, v35
	v_fma_f16 v110, v33, 0x3b76, -v104
	v_fmamk_f16 v111, v54, 0xbacd, v102
	v_add_f16_e32 v105, v108, v105
	v_add_f16_e32 v55, v109, v55
	v_mul_f16_sdwa v108, v35, v50 dst_sel:DWORD dst_unused:UNUSED_PAD src0_sel:WORD_1 src1_sel:DWORD
	v_fma_f16 v50, v37, 0xbacd, -v107
	v_fmamk_f16 v109, v58, 0x2de8, v106
	v_add_f16_e32 v105, v110, v105
	v_add_f16_e32 v55, v111, v55
	v_mul_f16_e32 v110, 0xb964, v36
	v_mov_b32_e32 v111, 0xb964
	v_fma_f16 v112, v40, 0x2de8, -v108
	v_add_f16_e32 v50, v50, v105
	v_add_f16_e32 v55, v109, v55
	v_fmamk_f16 v105, v59, 0x39e9, v110
	v_mul_f16_e32 v109, 0xb836, v30
	v_mul_f16_sdwa v113, v36, v111 dst_sel:DWORD dst_unused:UNUSED_PAD src0_sel:WORD_1 src1_sel:DWORD
	v_add_f16_e32 v50, v112, v50
	v_mul_f16_e32 v112, 0x3b29, v28
	v_add_f16_e32 v55, v105, v55
	v_fmamk_f16 v105, v52, 0xbacd, v109
	v_mul_f16_e32 v114, 0xb1e1, v38
	v_fma_f16 v115, v41, 0x39e9, -v113
	v_fmamk_f16 v118, v49, 0x3722, v112
	v_mul_f16_e32 v119, 0xbbf7, v27
	v_add_f16_sdwa v105, v6, v105 dst_sel:DWORD dst_unused:UNUSED_PAD src0_sel:WORD_1 src1_sel:DWORD
	v_fmamk_f16 v116, v61, 0xbbdd, v114
	v_mul_f16_sdwa v117, v38, v45 dst_sel:DWORD dst_unused:UNUSED_PAD src0_sel:WORD_1 src1_sel:DWORD
	v_mul_f16_e32 v120, 0x3b29, v39
	v_add_f16_e32 v50, v115, v50
	v_add_f16_e32 v105, v118, v105
	v_fmamk_f16 v115, v51, 0x2de8, v119
	v_mul_f16_e32 v118, 0x3a62, v31
	v_mov_b32_e32 v121, 0x3b29
	v_add_f16_e32 v55, v116, v55
	v_fma_f16 v116, v43, 0xbbdd, -v117
	v_fmamk_f16 v122, v65, 0x3722, v120
	v_add_f16_e32 v105, v115, v105
	v_fmamk_f16 v115, v54, 0xb8d2, v118
	v_mul_f16_e32 v123, 0xb5c8, v35
	v_mul_f16_sdwa v125, v30, v60 dst_sel:DWORD dst_unused:UNUSED_PAD src0_sel:WORD_1 src1_sel:DWORD
	v_add_f16_e32 v116, v116, v50
	v_mul_f16_e32 v126, 0xb1e1, v36
	v_add_f16_e32 v105, v115, v105
	v_fmamk_f16 v115, v58, 0x3b76, v123
	v_add_f16_e32 v50, v122, v55
	v_fma_f16 v55, v32, 0xbacd, -v125
	v_mul_f16_sdwa v122, v28, v121 dst_sel:DWORD dst_unused:UNUSED_PAD src0_sel:WORD_1 src1_sel:DWORD
	v_mul_f16_sdwa v124, v39, v121 dst_sel:DWORD dst_unused:UNUSED_PAD src0_sel:WORD_1 src1_sel:DWORD
	v_add_f16_e32 v105, v115, v105
	v_fmamk_f16 v115, v59, 0xbbdd, v126
	v_mul_f16_e32 v127, 0x3964, v38
	v_add_f16_e32 v55, v6, v55
	v_fma_f16 v128, v34, 0x3722, -v122
	v_mul_f16_sdwa v129, v27, v44 dst_sel:DWORD dst_unused:UNUSED_PAD src0_sel:WORD_1 src1_sel:DWORD
	v_fma_f16 v130, v42, 0x3722, -v124
	v_add_f16_e32 v105, v115, v105
	v_fmamk_f16 v115, v61, 0x39e9, v127
	v_add_f16_e32 v55, v128, v55
	v_fma_f16 v128, v33, 0x2de8, -v129
	v_mul_f16_sdwa v131, v31, v53 dst_sel:DWORD dst_unused:UNUSED_PAD src0_sel:WORD_1 src1_sel:DWORD
	v_add_f16_e32 v53, v130, v116
	v_add_f16_e32 v105, v115, v105
	v_fma_f16 v109, v52, 0xbacd, -v109
	v_add_f16_e32 v55, v128, v55
	v_fma_f16 v115, v37, 0xb8d2, -v131
	v_mul_f16_sdwa v116, v35, v75 dst_sel:DWORD dst_unused:UNUSED_PAD src0_sel:WORD_1 src1_sel:DWORD
	v_mul_f16_e32 v128, 0xbbb2, v39
	v_add_f16_sdwa v109, v6, v109 dst_sel:DWORD dst_unused:UNUSED_PAD src0_sel:WORD_1 src1_sel:DWORD
	v_fma_f16 v112, v49, 0x3722, -v112
	v_add_f16_e32 v55, v115, v55
	v_fma_f16 v115, v40, 0x3b76, -v116
	v_mul_f16_sdwa v130, v36, v45 dst_sel:DWORD dst_unused:UNUSED_PAD src0_sel:WORD_1 src1_sel:DWORD
	v_fmamk_f16 v132, v65, 0xb461, v128
	v_add_f16_e32 v109, v112, v109
	v_fma_f16 v112, v51, 0x2de8, -v119
	v_add_f16_e32 v115, v115, v55
	v_fma_f16 v119, v41, 0xbbdd, -v130
	v_mul_f16_sdwa v133, v38, v56 dst_sel:DWORD dst_unused:UNUSED_PAD src0_sel:WORD_1 src1_sel:DWORD
	v_add_f16_e32 v55, v132, v105
	v_add_f16_e32 v105, v112, v109
	v_fma_f16 v109, v54, 0xb8d2, -v118
	v_add_f16_e32 v112, v119, v115
	v_fma_f16 v115, v43, 0x39e9, -v133
	v_mul_f16_sdwa v118, v39, v57 dst_sel:DWORD dst_unused:UNUSED_PAD src0_sel:WORD_1 src1_sel:DWORD
	v_fmac_f16_e32 v125, 0xbacd, v32
	v_add_f16_e32 v57, v109, v105
	v_fma_f16 v105, v58, 0x3b76, -v123
	v_add_f16_e32 v109, v115, v112
	v_fma_f16 v112, v42, 0xb461, -v118
	v_add_f16_e32 v115, v6, v125
	v_fmac_f16_e32 v122, 0x3722, v34
	v_add_f16_e32 v105, v105, v57
	v_fma_f16 v74, v52, 0xb8d2, -v74
	v_add_f16_e32 v57, v112, v109
	v_fmac_f16_e32 v129, 0x2de8, v33
	v_add_f16_e32 v109, v122, v115
	v_fma_f16 v83, v49, 0xb461, -v83
	v_add_f16_sdwa v74, v6, v74 dst_sel:DWORD dst_unused:UNUSED_PAD src0_sel:WORD_1 src1_sel:DWORD
	v_fmac_f16_e32 v131, 0xb8d2, v37
	v_fma_f16 v101, v51, 0x3b76, -v101
	v_add_f16_e32 v109, v129, v109
	v_fmac_f16_e32 v116, 0x3b76, v40
	v_add_f16_e32 v83, v83, v74
	v_fmac_f16_e32 v100, 0xb8d2, v32
	v_fmac_f16_e32 v130, 0xbbdd, v41
	v_add_f16_e32 v109, v131, v109
	v_fmac_f16_e32 v103, 0xb461, v34
	v_add_f16_e32 v83, v101, v83
	v_fma_f16 v101, v54, 0xbacd, -v102
	v_add_f16_e32 v100, v6, v100
	v_add_f16_e32 v102, v116, v109
	v_fmac_f16_e32 v133, 0x39e9, v43
	v_fmac_f16_e32 v104, 0x3b76, v33
	v_add_f16_e32 v83, v101, v83
	v_fma_f16 v101, v58, 0x2de8, -v106
	v_add_f16_e32 v102, v130, v102
	v_add_f16_e32 v100, v103, v100
	v_fmac_f16_e32 v118, 0xb461, v42
	v_fmac_f16_e32 v107, 0xbacd, v37
	v_add_f16_e32 v83, v101, v83
	v_fma_f16 v101, v59, 0x39e9, -v110
	v_add_f16_e32 v102, v133, v102
	v_add_f16_e32 v100, v104, v100
	v_fma_f16 v119, v59, 0xbbdd, -v126
	v_fmac_f16_e32 v108, 0x2de8, v40
	v_add_f16_e32 v101, v101, v83
	v_add_f16_e32 v83, v118, v102
	v_mul_f16_e32 v102, 0xbbb2, v30
	v_add_f16_e32 v100, v107, v100
	v_add_f16_e32 v105, v119, v105
	v_fma_f16 v112, v61, 0x39e9, -v127
	v_fmac_f16_e32 v113, 0x39e9, v41
	v_sub_f16_e32 v79, v79, v102
	v_mul_f16_e32 v102, 0x3836, v28
	v_add_f16_e32 v100, v108, v100
	v_add_f16_e32 v105, v112, v105
	v_fma_f16 v112, v65, 0xb461, -v128
	v_add_f16_sdwa v79, v6, v79 dst_sel:DWORD dst_unused:UNUSED_PAD src0_sel:WORD_1 src1_sel:DWORD
	v_sub_f16_e32 v82, v82, v102
	v_mul_f16_e32 v102, 0x3964, v27
	v_add_f16_e32 v100, v113, v100
	v_fmac_f16_e32 v117, 0xbbdd, v43
	v_add_f16_e32 v74, v112, v105
	v_fma_f16 v103, v61, 0xbbdd, -v114
	v_mul_f16_e32 v104, 0xbbf7, v30
	v_mul_f16_e32 v105, 0xb461, v32
	v_add_f16_e32 v79, v82, v79
	v_sub_f16_e32 v82, v85, v102
	v_add_f16_e32 v100, v117, v100
	v_mul_f16_e32 v102, 0xbb29, v31
	v_fmac_f16_e32 v124, 0x3722, v42
	v_add_f16_e32 v101, v103, v101
	v_mul_f16_e32 v85, 0xb1e1, v28
	v_fma_f16 v107, v65, 0x3722, -v120
	v_add_f16_e32 v108, v82, v79
	v_mul_f16_e32 v109, 0xbacd, v34
	v_sub_f16_e32 v93, v93, v102
	v_add_f16_e32 v82, v124, v100
	v_mul_f16_e32 v100, 0xb1e1, v35
	v_add_f16_e32 v71, v105, v71
	v_sub_f16_e32 v67, v67, v104
	v_mul_f16_e32 v103, 0x2de8, v32
	v_add_f16_e32 v79, v107, v101
	v_mul_f16_e32 v101, 0x3bb2, v27
	v_add_f16_e32 v93, v93, v108
	v_mul_f16_e32 v107, 0x39e9, v33
	v_sub_f16_e32 v94, v94, v100
	v_mul_f16_e32 v100, 0x3bf7, v36
	v_add_f16_e32 v73, v109, v73
	v_add_f16_e32 v71, v6, v71
	v_sub_f16_e32 v69, v69, v85
	v_add_f16_sdwa v67, v6, v67 dst_sel:DWORD dst_unused:UNUSED_PAD src0_sel:WORD_1 src1_sel:DWORD
	v_mul_f16_e32 v106, 0xbbdd, v34
	v_mul_f16_e32 v108, 0x35c8, v31
	v_add_f16_e32 v93, v94, v93
	v_mul_f16_e32 v94, 0x3722, v37
	v_sub_f16_e32 v98, v98, v100
	v_add_f16_e32 v71, v73, v71
	v_add_f16_e32 v77, v107, v77
	;; [unrolled: 1-line block ×4, first 2 shown]
	v_sub_f16_e32 v66, v66, v101
	v_mul_f16_e32 v102, 0xb461, v33
	v_mul_f16_e32 v107, 0xbb29, v35
	v_add_f16_e32 v93, v98, v93
	v_mul_f16_e32 v98, 0xbbdd, v40
	v_add_f16_e32 v71, v77, v71
	v_add_f16_e32 v86, v94, v86
	;; [unrolled: 1-line block ×5, first 2 shown]
	v_sub_f16_e32 v67, v76, v108
	v_mul_f16_e32 v105, 0x3b76, v37
	v_mul_f16_e32 v77, 0xb836, v36
	;; [unrolled: 1-line block ×3, first 2 shown]
	v_add_f16_e32 v71, v86, v71
	v_add_f16_e32 v84, v98, v84
	;; [unrolled: 1-line block ×5, first 2 shown]
	v_sub_f16_e32 v67, v80, v107
	v_mul_f16_e32 v85, 0x3a62, v38
	v_mul_f16_e32 v103, 0x3b76, v43
	v_add_f16_e32 v71, v84, v71
	v_add_f16_e32 v62, v63, v62
	;; [unrolled: 1-line block ×5, first 2 shown]
	v_sub_f16_e32 v67, v87, v77
	v_mul_f16_e32 v73, 0xb5c8, v38
	v_mul_f16_e32 v106, 0xb8d2, v42
	v_add_f16_e32 v70, v70, v71
	v_add_f16_e32 v71, v103, v91
	;; [unrolled: 1-line block ×3, first 2 shown]
	v_sub_f16_e32 v67, v89, v85
	v_sub_f16_e32 v73, v99, v73
	v_mul_f16_e32 v69, 0x3964, v39
	v_mul_f16_e32 v101, 0xba62, v39
	v_add_f16_e32 v70, v71, v70
	v_add_f16_e32 v71, v106, v96
	v_add_f16_e32 v66, v67, v66
	v_mul_f16_e32 v67, 0x3722, v52
	v_add_f16_e32 v64, v73, v93
	v_sub_f16_e32 v73, v97, v101
	v_sub_f16_e32 v69, v95, v69
	v_add_f16_e32 v70, v71, v70
	v_fmamk_f16 v71, v30, 0x3b29, v67
	v_mul_f16_sdwa v68, v30, v68 dst_sel:DWORD dst_unused:UNUSED_PAD src0_sel:WORD_1 src1_sel:DWORD
	v_add_f16_e32 v64, v73, v64
	v_add_f16_e32 v66, v69, v66
	v_mul_f16_sdwa v73, v28, v72 dst_sel:DWORD dst_unused:UNUSED_PAD src0_sel:WORD_1 src1_sel:DWORD
	v_add_f16_sdwa v69, v6, v71 dst_sel:DWORD dst_unused:UNUSED_PAD src0_sel:WORD_1 src1_sel:DWORD
	v_fmamk_f16 v71, v32, 0x3722, v68
	v_mov_b32_e32 v76, 0x31e1
	v_mul_f16_e32 v100, 0x3722, v40
	v_fmamk_f16 v80, v34, 0xb8d2, v73
	v_mul_f16_sdwa v84, v31, v47 dst_sel:DWORD dst_unused:UNUSED_PAD src0_sel:WORD_1 src1_sel:DWORD
	v_add_f16_e32 v71, v6, v71
	v_mul_f16_sdwa v76, v27, v76 dst_sel:DWORD dst_unused:UNUSED_PAD src0_sel:WORD_1 src1_sel:DWORD
	v_mul_f16_e32 v99, 0xbacd, v41
	v_add_f16_e32 v62, v63, v62
	v_add_f16_e32 v63, v100, v78
	v_add_f16_e32 v71, v80, v71
	v_fmamk_f16 v80, v33, 0xbbdd, v76
	v_mul_f16_sdwa v56, v35, v56 dst_sel:DWORD dst_unused:UNUSED_PAD src0_sel:WORD_1 src1_sel:DWORD
	v_mul_f16_e32 v94, 0xb8d2, v43
	v_add_f16_e32 v62, v63, v62
	v_add_f16_e32 v63, v99, v81
	v_add_f16_e32 v71, v80, v71
	v_fmamk_f16 v80, v37, 0xb461, v84
	;; [unrolled: 6-line block ×4, first 2 shown]
	v_mul_f16_sdwa v90, v30, v111 dst_sel:DWORD dst_unused:UNUSED_PAD src0_sel:WORD_1 src1_sel:DWORD
	v_pk_add_f16 v7, v6, v7
	v_add_f16_e32 v62, v63, v62
	v_mul_f16_e32 v63, 0xb8d2, v49
	v_add_f16_e32 v71, v80, v71
	v_fmamk_f16 v80, v43, 0x2de8, v88
	v_mul_f16_e32 v49, 0x2de8, v49
	v_fmamk_f16 v91, v32, 0x39e9, v90
	v_mul_f16_sdwa v44, v28, v44 dst_sel:DWORD dst_unused:UNUSED_PAD src0_sel:WORD_1 src1_sel:DWORD
	v_pk_add_f16 v7, v7, v14
	v_add_f16_e32 v71, v80, v71
	v_fmamk_f16 v80, v30, 0x3964, v52
	v_fmamk_f16 v77, v28, 0x3a62, v63
	v_mul_f16_e32 v78, 0xbbdd, v51
	v_fmamk_f16 v92, v28, 0x3bf7, v49
	v_mul_f16_e32 v51, 0xb8d2, v51
	v_add_f16_sdwa v80, v6, v80 dst_sel:DWORD dst_unused:UNUSED_PAD src0_sel:WORD_1 src1_sel:DWORD
	v_add_f16_e32 v91, v6, v91
	v_fmamk_f16 v93, v34, 0x2de8, v44
	v_mul_f16_sdwa v72, v27, v72 dst_sel:DWORD dst_unused:UNUSED_PAD src0_sel:WORD_1 src1_sel:DWORD
	v_pk_add_f16 v7, v7, v15
	v_fmac_f16_e32 v67, 0xbb29, v30
	v_fma_f16 v68, v32, 0x3722, -v68
	v_add_f16_e32 v69, v77, v69
	v_fmamk_f16 v77, v27, 0xb1e1, v78
	v_mul_f16_e32 v81, 0xb461, v54
	v_add_f16_e32 v80, v92, v80
	v_fmamk_f16 v92, v27, 0x3a62, v51
	v_mul_f16_e32 v54, 0xbbdd, v54
	v_add_f16_e32 v91, v93, v91
	v_fmamk_f16 v93, v33, 0xb8d2, v72
	v_mul_f16_sdwa v45, v31, v45 dst_sel:DWORD dst_unused:UNUSED_PAD src0_sel:WORD_1 src1_sel:DWORD
	v_pk_add_f16 v7, v7, v16
	v_add_f16_sdwa v16, v6, v67 dst_sel:DWORD dst_unused:UNUSED_PAD src0_sel:WORD_1 src1_sel:DWORD
	v_fmac_f16_e32 v63, 0xba62, v28
	v_add_f16_e32 v67, v6, v68
	v_fma_f16 v68, v34, 0xb8d2, -v73
	v_fmac_f16_e32 v52, 0xb964, v30
	v_add_f16_e32 v69, v77, v69
	v_fmamk_f16 v77, v31, 0xbbb2, v81
	v_mul_f16_e32 v85, 0x39e9, v58
	v_add_f16_e32 v80, v92, v80
	v_fmamk_f16 v92, v31, 0x31e1, v54
	v_mul_f16_e32 v58, 0xbacd, v58
	v_add_f16_e32 v91, v93, v91
	v_fmamk_f16 v93, v37, 0xbbdd, v45
	v_mul_f16_sdwa v46, v35, v46 dst_sel:DWORD dst_unused:UNUSED_PAD src0_sel:WORD_1 src1_sel:DWORD
	v_pk_add_f16 v7, v7, v17
	v_add_f16_e32 v16, v63, v16
	v_add_f16_e32 v17, v68, v67
	v_fma_f16 v63, v33, 0xbbdd, -v76
	v_add_f16_sdwa v52, v6, v52 dst_sel:DWORD dst_unused:UNUSED_PAD src0_sel:WORD_1 src1_sel:DWORD
	v_fmac_f16_e32 v49, 0xbbf7, v28
	v_add_f16_e32 v69, v77, v69
	v_fmamk_f16 v77, v35, 0xb964, v85
	v_mul_f16_e32 v86, 0x3b76, v59
	v_add_f16_e32 v80, v92, v80
	v_fmamk_f16 v92, v35, 0xb836, v58
	v_mul_f16_e32 v59, 0xb461, v59
	v_add_f16_e32 v91, v93, v91
	v_fmamk_f16 v93, v40, 0xbacd, v46
	v_mul_f16_sdwa v47, v36, v47 dst_sel:DWORD dst_unused:UNUSED_PAD src0_sel:WORD_1 src1_sel:DWORD
	v_add_f16_e32 v17, v63, v17
	v_fma_f16 v63, v37, 0xb461, -v84
	v_add_f16_e32 v49, v49, v52
	v_fmac_f16_e32 v51, 0xba62, v27
	v_add_f16_e32 v69, v77, v69
	v_fmamk_f16 v77, v36, 0x35c8, v86
	v_mul_f16_e32 v87, 0x2de8, v61
	v_add_f16_e32 v80, v92, v80
	v_fmamk_f16 v92, v36, 0xbbb2, v59
	v_mul_f16_e32 v61, 0x3722, v61
	v_add_f16_e32 v91, v93, v91
	v_fmamk_f16 v93, v41, 0xb461, v47
	v_mul_f16_sdwa v94, v38, v121 dst_sel:DWORD dst_unused:UNUSED_PAD src0_sel:WORD_1 src1_sel:DWORD
	v_add_f16_e32 v17, v63, v17
	v_fma_f16 v52, v40, 0x39e9, -v56
	v_add_f16_e32 v49, v51, v49
	;; [unrolled: 13-line block ×3, first 2 shown]
	v_fmac_f16_e32 v58, 0x3836, v35
	v_add_f16_e32 v69, v77, v69
	v_fmamk_f16 v77, v39, 0x3836, v89
	v_mul_f16_sdwa v60, v39, v60 dst_sel:DWORD dst_unused:UNUSED_PAD src0_sel:WORD_1 src1_sel:DWORD
	v_add_f16_e32 v80, v92, v80
	v_fmamk_f16 v92, v39, 0xb5c8, v65
	v_add_f16_e32 v91, v93, v91
	v_fmamk_f16 v93, v42, 0x3b76, v48
	v_add_f16_e32 v17, v51, v17
	v_fma_f16 v51, v43, 0x2de8, -v88
	v_add_f16_e32 v49, v58, v49
	v_fmac_f16_e32 v59, 0x3bb2, v36
	v_add_f16_e32 v69, v77, v69
	v_add_f16_e32 v77, v92, v80
	;; [unrolled: 1-line block ×3, first 2 shown]
	v_pk_mul_f16 v91, 0xb5c8, v30 op_sel_hi:[0,1]
	v_add_f16_e32 v17, v51, v17
	v_fma_f16 v51, v42, 0xbacd, -v60
	v_add_f16_e32 v49, v59, v49
	v_fmac_f16_e32 v61, 0x3b29, v38
	v_fma_f16 v52, v32, 0x39e9, -v90
	v_pk_add_f16 v7, v7, v18
	v_pk_mul_f16 v92, 0xb964, v28 op_sel_hi:[0,1]
	v_add_f16_e32 v17, v51, v17
	v_add_f16_e32 v18, v61, v49
	;; [unrolled: 1-line block ×3, first 2 shown]
	v_fma_f16 v44, v34, 0x2de8, -v44
	v_pk_add_f16 v7, v7, v19
	v_pk_fma_f16 v19, 0x3b76, v32, v91 op_sel:[0,0,1] op_sel_hi:[0,1,0]
	v_pk_fma_f16 v51, 0x3b76, v32, v91 op_sel:[0,0,1] op_sel_hi:[0,1,0] neg_lo:[0,0,1] neg_hi:[0,0,1]
	v_pk_mul_f16 v14, 0xbb29, v27 op_sel_hi:[0,1]
	v_add_f16_e32 v44, v44, v49
	v_fma_f16 v49, v33, 0xb8d2, -v72
	v_pk_add_f16 v7, v7, v20
	v_bfi_b32 v20, 0xffff, v19, v51
	v_pk_fma_f16 v52, 0x39e9, v34, v92 op_sel:[0,0,1] op_sel_hi:[0,1,0]
	v_pk_fma_f16 v54, 0x39e9, v34, v92 op_sel:[0,0,1] op_sel_hi:[0,1,0] neg_lo:[0,0,1] neg_hi:[0,0,1]
	v_fmamk_f16 v95, v42, 0xbacd, v60
	v_pk_mul_f16 v93, 0xbbf7, v31 op_sel_hi:[0,1]
	v_add_f16_e32 v44, v49, v44
	v_fma_f16 v45, v37, 0xbbdd, -v45
	v_pk_add_f16 v7, v7, v21
	v_pk_add_f16 v20, v6, v20
	v_bfi_b32 v21, 0xffff, v52, v54
	v_pk_fma_f16 v49, 0x3722, v33, v14 op_sel:[0,0,1] op_sel_hi:[0,1,0]
	v_pk_fma_f16 v14, 0x3722, v33, v14 op_sel:[0,0,1] op_sel_hi:[0,1,0] neg_lo:[0,0,1] neg_hi:[0,0,1]
	v_add_f16_e32 v71, v95, v71
	v_pk_mul_f16 v95, 0xbbb2, v35 op_sel_hi:[0,1]
	v_add_f16_e32 v44, v45, v44
	v_fma_f16 v45, v40, 0xbacd, -v46
	v_pk_add_f16 v7, v7, v12
	v_pk_add_f16 v12, v21, v20
	v_bfi_b32 v20, 0xffff, v49, v14
	v_pk_fma_f16 v21, 0x2de8, v37, v93 op_sel:[0,0,1] op_sel_hi:[0,1,0]
	v_pk_fma_f16 v46, 0x2de8, v37, v93 op_sel:[0,0,1] op_sel_hi:[0,1,0] neg_lo:[0,0,1] neg_hi:[0,0,1]
	v_pk_mul_f16 v96, 0xba62, v36 op_sel_hi:[0,1]
	v_add_f16_e32 v44, v45, v44
	v_fma_f16 v45, v41, 0xb461, -v47
	v_pk_add_f16 v7, v7, v13
	v_pk_add_f16 v12, v20, v12
	v_bfi_b32 v13, 0xffff, v21, v46
	v_pk_fma_f16 v20, 0xb461, v40, v95 op_sel:[0,0,1] op_sel_hi:[0,1,0]
	v_pk_fma_f16 v47, 0xb461, v40, v95 op_sel:[0,0,1] op_sel_hi:[0,1,0] neg_lo:[0,0,1] neg_hi:[0,0,1]
	v_pk_mul_f16 v15, 0xb836, v38 op_sel_hi:[0,1]
	v_pk_add_f16 v7, v7, v10
	v_pk_add_f16 v10, v13, v12
	v_pk_fma_f16 v13, 0xb8d2, v41, v96 op_sel:[0,0,1] op_sel_hi:[0,1,0]
	v_bfi_b32 v12, 0xffff, v20, v47
	v_pk_fma_f16 v56, 0xb8d2, v41, v96 op_sel:[0,0,1] op_sel_hi:[0,1,0] neg_lo:[0,0,1] neg_hi:[0,0,1]
	v_pk_mul_f16 v97, 0xb1e1, v39 op_sel_hi:[0,1]
	v_add_f16_e32 v44, v45, v44
	v_fma_f16 v45, v43, 0x3722, -v94
	v_pk_add_f16 v7, v7, v11
	v_pk_add_f16 v10, v12, v10
	v_bfi_b32 v11, 0xffff, v13, v56
	v_pk_fma_f16 v12, 0xbacd, v43, v15 op_sel:[0,0,1] op_sel_hi:[0,1,0]
	v_pk_fma_f16 v15, 0xbacd, v43, v15 op_sel:[0,0,1] op_sel_hi:[0,1,0] neg_lo:[0,0,1] neg_hi:[0,0,1]
	v_add_f16_e32 v44, v45, v44
	v_fma_f16 v45, v42, 0x3b76, -v48
	v_pk_add_f16 v7, v7, v8
	v_pk_mul_f16 v8, 0xbbdd, v32 op_sel_hi:[0,1]
	v_pk_add_f16 v10, v11, v10
	v_bfi_b32 v11, 0xffff, v12, v15
	v_pk_fma_f16 v32, 0xbbdd, v42, v97 op_sel:[0,0,1] op_sel_hi:[0,1,0]
	v_pk_fma_f16 v48, 0xbbdd, v42, v97 op_sel:[0,0,1] op_sel_hi:[0,1,0] neg_lo:[0,0,1] neg_hi:[0,0,1]
	v_pk_add_f16 v7, v7, v9
	v_lshl_add_u32 v60, v0, 6, v22
	v_pk_add_f16 v9, v11, v10
	v_pk_fma_f16 v58, 0xb1e1, v30, v8 op_sel:[0,0,1] op_sel_hi:[0,1,0]
	v_bfi_b32 v10, 0xffff, v32, v48
	v_pk_add_f16 v7, v7, v29
	v_alignbit_b32 v59, s0, v6, 16
	v_pk_mul_f16 v34, 0x3b76, v34 op_sel_hi:[0,1]
	v_pk_mul_f16 v29, 0x39e9, v37 op_sel_hi:[0,1]
	v_pk_add_f16 v9, v10, v9
	v_add_f16_e32 v37, v45, v44
	v_pack_b32_f16 v44, v80, v77
	v_pack_b32_f16 v45, v70, v64
	;; [unrolled: 1-line block ×3, first 2 shown]
	ds_write2_b32 v60, v7, v9 offset1:1
	v_pack_b32_f16 v7, v71, v69
	v_pk_add_f16 v11, v59, v58
	v_pk_fma_f16 v59, 0x35c8, v28, v34 op_sel:[0,0,1] op_sel_hi:[0,1,0]
	v_pk_mul_f16 v33, 0xbacd, v33 op_sel_hi:[0,1]
	ds_write2_b32 v60, v44, v7 offset0:2 offset1:3
	ds_write2_b32 v60, v61, v45 offset0:4 offset1:5
	v_pk_fma_f16 v8, 0xb1e1, v30, v8 op_sel:[0,0,1] op_sel_hi:[0,1,0] neg_lo:[0,1,0] neg_hi:[0,1,0]
	v_alignbit_b32 v45, s0, v58, 16
	v_pk_add_f16 v10, v59, v11
	v_pk_fma_f16 v11, 0xb836, v27, v33 op_sel:[0,0,1] op_sel_hi:[0,1,0]
	v_pk_fma_f16 v28, 0x35c8, v28, v34 op_sel:[0,0,1] op_sel_hi:[0,1,0] neg_lo:[0,1,0] neg_hi:[0,1,0]
	v_pk_add_f16 v8, v6, v8 op_sel:[1,0] op_sel_hi:[0,1]
	v_pk_add_f16 v34, v6, v45
	v_alignbit_b32 v45, s0, v59, 16
	v_bfi_b32 v19, 0xffff, v51, v19
	v_fmac_f16_e32 v78, 0x31e1, v27
	v_pk_add_f16 v9, v11, v10
	v_pk_fma_f16 v10, 0x3964, v31, v29 op_sel:[0,0,1] op_sel_hi:[0,1,0]
	v_pk_mul_f16 v40, 0xb8d2, v40 op_sel_hi:[0,1]
	v_pk_add_f16 v8, v28, v8
	v_pk_fma_f16 v27, 0xb836, v27, v33 op_sel:[0,0,1] op_sel_hi:[0,1,0] neg_lo:[0,1,0] neg_hi:[0,1,0]
	v_pk_add_f16 v28, v45, v34
	v_alignbit_b32 v11, s0, v11, 16
	v_pk_add_f16 v6, v6, v19
	v_bfi_b32 v19, 0xffff, v54, v52
	v_pk_add_f16 v9, v10, v9
	v_pk_fma_f16 v62, 0xba62, v35, v40 op_sel:[0,0,1] op_sel_hi:[0,1,0]
	v_pk_mul_f16 v41, 0x3722, v41 op_sel_hi:[0,1]
	v_pk_add_f16 v8, v27, v8
	v_pk_fma_f16 v27, 0x3964, v31, v29 op_sel:[0,0,1] op_sel_hi:[0,1,0] neg_lo:[0,1,0] neg_hi:[0,1,0]
	v_pk_add_f16 v11, v11, v28
	v_alignbit_b32 v10, s0, v10, 16
	v_add_f16_e32 v16, v78, v16
	v_fmac_f16_e32 v81, 0x3bb2, v31
	v_pk_add_f16 v6, v19, v6
	v_bfi_b32 v14, 0xffff, v14, v49
	v_pk_fma_f16 v44, 0x3b29, v36, v41 op_sel:[0,0,1] op_sel_hi:[0,1,0]
	v_pk_mul_f16 v43, 0xb461, v43 op_sel_hi:[0,1]
	v_pk_add_f16 v8, v27, v8
	v_pk_fma_f16 v27, 0xba62, v35, v40 op_sel:[0,0,1] op_sel_hi:[0,1,0] neg_lo:[0,1,0] neg_hi:[0,1,0]
	v_pk_add_f16 v10, v10, v11
	v_alignbit_b32 v11, s0, v62, 16
	v_add_f16_e32 v16, v81, v16
	v_fmac_f16_e32 v85, 0x3964, v35
	v_pk_add_f16 v6, v14, v6
	v_bfi_b32 v14, 0xffff, v46, v21
	v_pk_add_f16 v9, v62, v9
	v_pk_fma_f16 v58, 0xbbb2, v38, v43 op_sel:[0,0,1] op_sel_hi:[0,1,0]
	v_pk_mul_f16 v42, 0x2de8, v42 op_sel_hi:[0,1]
	v_pk_add_f16 v8, v27, v8
	v_pk_fma_f16 v19, 0x3b29, v36, v41 op_sel:[0,0,1] op_sel_hi:[0,1,0] neg_lo:[0,1,0] neg_hi:[0,1,0]
	v_pk_add_f16 v10, v11, v10
	v_alignbit_b32 v11, s0, v44, 16
	v_add_f16_e32 v16, v85, v16
	v_fmac_f16_e32 v86, 0xb5c8, v36
	v_pk_add_f16 v6, v14, v6
	v_bfi_b32 v14, 0xffff, v47, v20
	v_pk_add_f16 v9, v44, v9
	v_pk_fma_f16 v33, 0x3bf7, v39, v42 op_sel:[0,0,1] op_sel_hi:[0,1,0]
	v_pk_add_f16 v8, v19, v8
	v_pk_fma_f16 v19, 0xbbb2, v38, v43 op_sel:[0,0,1] op_sel_hi:[0,1,0] neg_lo:[0,1,0] neg_hi:[0,1,0]
	v_pk_add_f16 v10, v11, v10
	v_alignbit_b32 v11, s0, v58, 16
	v_add_f16_e32 v16, v86, v16
	v_fmac_f16_e32 v87, 0xbbf7, v38
	v_pack_b32_f16 v7, v83, v74
	v_pack_b32_f16 v30, v82, v79
	v_pk_add_f16 v6, v14, v6
	v_bfi_b32 v13, 0xffff, v56, v13
	v_pk_add_f16 v9, v58, v9
	v_pk_add_f16 v8, v19, v8
	v_pk_fma_f16 v19, 0x3bf7, v39, v42 op_sel:[0,0,1] op_sel_hi:[0,1,0] neg_lo:[0,1,0] neg_hi:[0,1,0]
	v_pk_add_f16 v10, v11, v10
	v_alignbit_b32 v11, s0, v33, 16
	v_add_f16_e32 v16, v87, v16
	v_fmac_f16_e32 v89, 0xb836, v39
	v_fmac_f16_e32 v65, 0x35c8, v39
	ds_write2_b32 v60, v30, v7 offset0:6 offset1:7
	v_pk_add_f16 v6, v13, v6
	v_bfi_b32 v7, 0xffff, v15, v12
	v_pk_add_f16 v9, v33, v9
	v_pk_add_f16 v8, v19, v8
	;; [unrolled: 1-line block ×3, first 2 shown]
	v_add_f16_e32 v16, v89, v16
	v_add_f16_e32 v18, v65, v18
	v_pk_add_f16 v6, v7, v6
	v_bfi_b32 v7, 0xffff, v48, v32
	v_alignbit_b32 v9, v9, v8, 16
	v_pack_b32_f16 v8, v10, v8
	v_pack_b32_f16 v10, v53, v50
	;; [unrolled: 1-line block ×3, first 2 shown]
	v_perm_b32 v12, v23, v1, 0x5040100
	v_perm_b32 v13, v24, v5, 0x5040100
	v_pack_b32_f16 v14, v37, v18
	v_pack_b32_f16 v15, v17, v16
	v_pk_add_f16 v6, v7, v6
	ds_write2_b32 v60, v8, v9 offset0:8 offset1:9
	ds_write2_b32 v60, v11, v10 offset0:10 offset1:11
	;; [unrolled: 1-line block ×4, first 2 shown]
	ds_write_b32 v60, v6 offset:64
.LBB0_13:
	s_or_b32 exec_lo, exec_lo, s1
	v_and_b32_e32 v6, 0xff, v0
	v_add_nc_u16 v16, v0, 0x77
	v_mov_b32_e32 v8, 0xf0f1
	v_add_nc_u32_e32 v7, 0xee, v0
	v_add_nc_u32_e32 v10, 0x1dc, v0
	v_mul_lo_u16 v28, 0xf1, v6
	v_add_nc_u32_e32 v6, 0x253, v0
	v_add_nc_u32_e32 v9, 0x165, v0
	v_and_b32_e32 v11, 0xff, v16
	v_mul_u32_u24_sdwa v13, v7, v8 dst_sel:DWORD dst_unused:UNUSED_PAD src0_sel:WORD_0 src1_sel:DWORD
	v_mul_u32_u24_sdwa v15, v10, v8 dst_sel:DWORD dst_unused:UNUSED_PAD src0_sel:WORD_0 src1_sel:DWORD
	;; [unrolled: 1-line block ×4, first 2 shown]
	v_mul_lo_u16 v17, 0xf1, v11
	v_lshrrev_b32_e32 v29, 20, v13
	v_lshrrev_b32_e32 v30, 20, v15
	;; [unrolled: 1-line block ×4, first 2 shown]
	v_lshrrev_b16 v32, 12, v17
	v_lshrrev_b16 v20, 12, v28
	v_mul_lo_u16 v11, v29, 17
	v_mul_lo_u16 v8, v21, 17
	;; [unrolled: 1-line block ×4, first 2 shown]
	v_mov_b32_e32 v27, 2
	v_mul_lo_u16 v14, v20, 17
	v_sub_nc_u16 v6, v6, v8
	v_mul_lo_u16 v8, v32, 17
	v_sub_nc_u16 v7, v7, v11
	v_sub_nc_u16 v10, v10, v12
	;; [unrolled: 1-line block ×3, first 2 shown]
	v_lshlrev_b32_sdwa v33, v27, v6 dst_sel:DWORD dst_unused:UNUSED_PAD src0_sel:DWORD src1_sel:WORD_0
	v_sub_nc_u16 v6, v16, v8
	v_lshlrev_b32_sdwa v36, v27, v7 dst_sel:DWORD dst_unused:UNUSED_PAD src0_sel:DWORD src1_sel:WORD_0
	v_sub_nc_u16 v7, v0, v14
	v_lshlrev_b32_sdwa v34, v27, v10 dst_sel:DWORD dst_unused:UNUSED_PAD src0_sel:DWORD src1_sel:WORD_0
	v_lshlrev_b32_sdwa v35, v27, v9 dst_sel:DWORD dst_unused:UNUSED_PAD src0_sel:DWORD src1_sel:WORD_0
	s_waitcnt lgkmcnt(0)
	s_barrier
	buffer_gl0_inv
	global_load_dword v37, v33, s[8:9]
	v_lshlrev_b32_sdwa v41, v27, v6 dst_sel:DWORD dst_unused:UNUSED_PAD src0_sel:DWORD src1_sel:BYTE_0
	v_lshlrev_b32_sdwa v42, v27, v7 dst_sel:DWORD dst_unused:UNUSED_PAD src0_sel:DWORD src1_sel:BYTE_0
	s_clause 0x4
	global_load_dword v38, v34, s[8:9]
	global_load_dword v39, v35, s[8:9]
	;; [unrolled: 1-line block ×5, first 2 shown]
	v_add_nc_u32_e32 v6, 0x1200, v22
	v_add_nc_u32_e32 v14, 0xa00, v22
	v_add_nc_u32_e32 v18, 0x200, v22
	ds_read2_b32 v[10:11], v22 offset1:119
	v_mov_b32_e32 v45, 0x88
	ds_read2_b32 v[6:7], v6 offset0:38 offset1:157
	ds_read2_b32 v[8:9], v4 offset0:56 offset1:175
	;; [unrolled: 1-line block ×5, first 2 shown]
	v_mul_u32_u24_e32 v21, 0x88, v21
	v_mul_u32_u24_e32 v30, 0x88, v30
	v_mul_u32_u24_sdwa v4, v20, v45 dst_sel:DWORD dst_unused:UNUSED_PAD src0_sel:WORD_0 src1_sel:DWORD
	v_mul_u32_u24_e32 v20, 0x88, v29
	v_mul_u32_u24_e32 v29, 0x88, v31
	v_mul_u32_u24_sdwa v31, v32, v45 dst_sel:DWORD dst_unused:UNUSED_PAD src0_sel:WORD_0 src1_sel:DWORD
	v_add3_u32 v21, 0, v21, v33
	v_add3_u32 v32, 0, v4, v42
	;; [unrolled: 1-line block ×6, first 2 shown]
	s_waitcnt vmcnt(0) lgkmcnt(0)
	s_barrier
	buffer_gl0_inv
	v_cmp_gt_u32_e64 s0, 0x55, v0
	v_pk_mul_f16 v4, v7, v37 op_sel:[0,1]
	v_pk_mul_f16 v33, v38, v6 op_sel:[0,1]
	;; [unrolled: 1-line block ×4, first 2 shown]
	v_pk_fma_f16 v36, v7, v37, v4 op_sel:[0,0,1] op_sel_hi:[1,1,0]
	v_pk_fma_f16 v4, v7, v37, v4 op_sel:[0,0,1] op_sel_hi:[1,0,0] neg_lo:[0,0,1] neg_hi:[0,0,1]
	v_pk_fma_f16 v7, v38, v6, v33 op_sel:[0,0,1] op_sel_hi:[1,1,0]
	v_pk_fma_f16 v6, v38, v6, v33 op_sel:[0,0,1] op_sel_hi:[1,0,0] neg_lo:[1,0,0] neg_hi:[1,0,0]
	v_pk_mul_f16 v38, v44, v14 op_sel:[0,1]
	v_pk_mul_f16 v37, v43, v15 op_sel:[0,1]
	v_pk_fma_f16 v33, v39, v9, v34 op_sel:[0,0,1] op_sel_hi:[1,1,0]
	v_pk_fma_f16 v9, v39, v9, v34 op_sel:[0,0,1] op_sel_hi:[1,0,0] neg_lo:[1,0,0] neg_hi:[1,0,0]
	v_pk_fma_f16 v34, v40, v8, v35 op_sel:[0,0,1] op_sel_hi:[1,1,0]
	v_pk_fma_f16 v39, v44, v14, v38 op_sel:[0,0,1] op_sel_hi:[1,1,0]
	v_pk_fma_f16 v14, v44, v14, v38 op_sel:[0,0,1] op_sel_hi:[1,0,0] neg_lo:[1,0,0] neg_hi:[1,0,0]
	v_pk_fma_f16 v8, v40, v8, v35 op_sel:[0,0,1] op_sel_hi:[1,0,0] neg_lo:[1,0,0] neg_hi:[1,0,0]
	v_pk_fma_f16 v35, v43, v15, v37 op_sel:[0,0,1] op_sel_hi:[1,1,0]
	v_pk_fma_f16 v15, v43, v15, v37 op_sel:[0,0,1] op_sel_hi:[1,0,0] neg_lo:[1,0,0] neg_hi:[1,0,0]
	v_bfi_b32 v6, 0xffff, v7, v6
	v_bfi_b32 v7, 0xffff, v33, v9
	v_bfi_b32 v9, 0xffff, v39, v14
	v_bfi_b32 v4, 0xffff, v36, v4
	v_bfi_b32 v14, 0xffff, v35, v15
	v_bfi_b32 v15, 0xffff, v34, v8
	v_pk_add_f16 v8, v12, v6 neg_lo:[0,1] neg_hi:[0,1]
	v_pk_add_f16 v33, v10, v9 neg_lo:[0,1] neg_hi:[0,1]
	;; [unrolled: 1-line block ×6, first 2 shown]
	v_pk_fma_f16 v10, v10, 2.0, v33 op_sel_hi:[1,0,1] neg_lo:[0,0,1] neg_hi:[0,0,1]
	v_pk_fma_f16 v9, v13, 2.0, v4 op_sel_hi:[1,0,1] neg_lo:[0,0,1] neg_hi:[0,0,1]
	;; [unrolled: 1-line block ×6, first 2 shown]
	ds_write2_b32 v32, v10, v33 offset1:17
	ds_write2_b32 v31, v11, v14 offset1:17
	;; [unrolled: 1-line block ×6, first 2 shown]
	s_waitcnt lgkmcnt(0)
	s_barrier
	buffer_gl0_inv
	ds_read2_b32 v[10:11], v22 offset1:204
	ds_read2_b32 v[14:15], v26 offset0:24 offset1:228
	ds_read2_b32 v[12:13], v25 offset0:48 offset1:252
	ds_read_b32 v29, v22 offset:4896
	v_lshrrev_b32_e32 v20, 16, v9
	v_lshrrev_b32_e32 v21, 16, v4
	;; [unrolled: 1-line block ×5, first 2 shown]
	s_and_saveexec_b32 s1, s0
	s_cbranch_execz .LBB0_15
; %bb.14:
	v_add_nc_u32_e32 v4, 0x180, v22
	v_add_nc_u32_e32 v5, 0x800, v22
	;; [unrolled: 1-line block ×3, first 2 shown]
	ds_read_b32 v1, v22 offset:5372
	ds_read2_b32 v[6:7], v4 offset0:23 offset1:227
	ds_read2_b32 v[8:9], v5 offset0:15 offset1:219
	;; [unrolled: 1-line block ×3, first 2 shown]
	ds_read_u16 v19, v22 offset:2110
	s_waitcnt lgkmcnt(4)
	v_lshrrev_b32_e32 v23, 16, v1
	s_waitcnt lgkmcnt(3)
	v_lshrrev_b32_e32 v18, 16, v6
	;; [unrolled: 2-line block ×4, first 2 shown]
	v_lshrrev_b32_e32 v24, 16, v5
	v_lshrrev_b32_e32 v25, 16, v7
.LBB0_15:
	s_or_b32 exec_lo, exec_lo, s1
	v_lshrrev_b16 v36, 13, v28
	v_mov_b32_e32 v26, 6
	s_waitcnt lgkmcnt(3)
	v_lshrrev_b32_e32 v38, 16, v11
	s_waitcnt lgkmcnt(2)
	v_lshrrev_b32_e32 v39, 16, v14
	;; [unrolled: 2-line block ×3, first 2 shown]
	v_mul_lo_u16 v28, v36, 34
	v_lshrrev_b32_e32 v41, 16, v13
	s_waitcnt lgkmcnt(0)
	v_lshrrev_b32_e32 v42, 16, v29
	v_sub_nc_u16 v37, v0, v28
	v_mul_u32_u24_sdwa v28, v37, v26 dst_sel:DWORD dst_unused:UNUSED_PAD src0_sel:BYTE_0 src1_sel:DWORD
	v_lshlrev_b32_sdwa v27, v27, v37 dst_sel:DWORD dst_unused:UNUSED_PAD src0_sel:DWORD src1_sel:BYTE_0
	v_lshrrev_b32_e32 v37, 16, v15
	v_lshlrev_b32_e32 v28, 2, v28
	s_clause 0x1
	global_load_dwordx4 v[30:33], v28, s[8:9] offset:68
	global_load_dwordx2 v[34:35], v28, s[8:9] offset:84
	v_mov_b32_e32 v28, 0x3b8
	s_waitcnt vmcnt(0)
	s_barrier
	buffer_gl0_inv
	v_mul_u32_u24_sdwa v36, v36, v28 dst_sel:DWORD dst_unused:UNUSED_PAD src0_sel:WORD_0 src1_sel:DWORD
	v_add3_u32 v27, 0, v36, v27
	v_mul_f16_sdwa v36, v30, v38 dst_sel:DWORD dst_unused:UNUSED_PAD src0_sel:WORD_1 src1_sel:DWORD
	v_mul_f16_sdwa v43, v30, v11 dst_sel:DWORD dst_unused:UNUSED_PAD src0_sel:WORD_1 src1_sel:DWORD
	;; [unrolled: 1-line block ×12, first 2 shown]
	v_fmac_f16_e32 v36, v30, v11
	v_fma_f16 v11, v30, v38, -v43
	v_fmac_f16_e32 v44, v31, v14
	v_fma_f16 v14, v31, v39, -v45
	v_fmac_f16_e32 v48, v33, v12
	v_fmac_f16_e32 v52, v35, v29
	v_fma_f16 v12, v35, v42, -v53
	v_fmac_f16_e32 v50, v34, v13
	v_fma_f16 v13, v34, v41, -v51
	;; [unrolled: 2-line block ×3, first 2 shown]
	v_fma_f16 v29, v33, v40, -v49
	v_add_f16_e32 v30, v36, v52
	v_add_f16_e32 v31, v11, v12
	v_sub_f16_e32 v11, v11, v12
	v_add_f16_e32 v12, v44, v50
	v_add_f16_e32 v33, v14, v13
	v_sub_f16_e32 v32, v36, v52
	v_sub_f16_e32 v34, v44, v50
	;; [unrolled: 1-line block ×3, first 2 shown]
	v_add_f16_e32 v14, v46, v48
	v_add_f16_e32 v35, v15, v29
	v_sub_f16_e32 v36, v48, v46
	v_sub_f16_e32 v15, v29, v15
	v_add_f16_e32 v29, v12, v30
	v_add_f16_e32 v37, v33, v31
	v_sub_f16_e32 v38, v12, v30
	v_sub_f16_e32 v39, v33, v31
	;; [unrolled: 1-line block ×6, first 2 shown]
	v_add_f16_e32 v40, v36, v34
	v_add_f16_e32 v41, v15, v13
	v_sub_f16_e32 v42, v36, v34
	v_sub_f16_e32 v43, v15, v13
	;; [unrolled: 1-line block ×3, first 2 shown]
	v_add_f16_e32 v14, v14, v29
	v_add_f16_e32 v29, v35, v37
	v_sub_f16_e32 v34, v34, v32
	v_sub_f16_e32 v36, v32, v36
	;; [unrolled: 1-line block ×3, first 2 shown]
	v_add_f16_e32 v32, v40, v32
	v_add_f16_e32 v11, v41, v11
	v_mul_f16_e32 v30, 0x3a52, v30
	v_mul_f16_e32 v31, 0x3a52, v31
	;; [unrolled: 1-line block ×7, first 2 shown]
	v_add_f16_e32 v44, v14, v10
	v_add_f16_sdwa v10, v29, v10 dst_sel:DWORD dst_unused:UNUSED_PAD src0_sel:DWORD src1_sel:WORD_1
	v_mul_f16_e32 v42, 0xbb00, v34
	v_fmamk_f16 v12, v12, 0x2b26, v30
	v_fmamk_f16 v33, v33, 0x2b26, v31
	v_fma_f16 v35, v38, 0x39e0, -v35
	v_fma_f16 v37, v39, 0x39e0, -v37
	;; [unrolled: 1-line block ×4, first 2 shown]
	v_fmamk_f16 v38, v36, 0xb574, v40
	v_fmamk_f16 v39, v15, 0xb574, v41
	v_fma_f16 v13, v13, 0xbb00, -v41
	v_fma_f16 v15, v15, 0x3574, -v43
	v_fmamk_f16 v14, v14, 0xbcab, v44
	v_fmamk_f16 v29, v29, 0xbcab, v10
	v_fma_f16 v34, v34, 0xbb00, -v40
	v_fma_f16 v36, v36, 0x3574, -v42
	v_fmac_f16_e32 v38, 0xb70e, v32
	v_fmac_f16_e32 v39, 0xb70e, v11
	;; [unrolled: 1-line block ×4, first 2 shown]
	v_add_f16_e32 v11, v12, v14
	v_add_f16_e32 v12, v33, v29
	v_fmac_f16_e32 v34, 0xb70e, v32
	v_fmac_f16_e32 v36, 0xb70e, v32
	v_add_f16_e32 v32, v35, v14
	v_add_f16_e32 v14, v30, v14
	;; [unrolled: 1-line block ×5, first 2 shown]
	v_sub_f16_e32 v33, v12, v38
	v_add_f16_e32 v35, v15, v14
	v_sub_f16_e32 v37, v30, v36
	v_sub_f16_e32 v40, v32, v13
	v_add_f16_e32 v41, v34, v29
	v_add_f16_e32 v13, v13, v32
	v_sub_f16_e32 v29, v29, v34
	v_sub_f16_e32 v14, v14, v15
	v_add_f16_e32 v15, v36, v30
	v_sub_f16_e32 v11, v11, v39
	v_add_f16_e32 v12, v38, v12
	v_pack_b32_f16 v10, v44, v10
	v_pack_b32_f16 v30, v31, v33
	v_pack_b32_f16 v31, v35, v37
	v_pack_b32_f16 v32, v40, v41
	v_pack_b32_f16 v13, v13, v29
	v_pack_b32_f16 v14, v14, v15
	v_pack_b32_f16 v11, v11, v12
	ds_write2_b32 v27, v10, v30 offset1:34
	ds_write2_b32 v27, v31, v32 offset0:68 offset1:102
	ds_write2_b32 v27, v13, v14 offset0:136 offset1:170
	ds_write_b32 v27, v11 offset:816
	s_and_saveexec_b32 s1, s0
	s_cbranch_execz .LBB0_17
; %bb.16:
	v_lshrrev_b16 v17, 13, v17
	v_mul_lo_u16 v10, v17, 34
	v_mul_u32_u24_sdwa v17, v17, v28 dst_sel:DWORD dst_unused:UNUSED_PAD src0_sel:WORD_0 src1_sel:DWORD
	v_sub_nc_u16 v16, v16, v10
	v_mul_u32_u24_sdwa v10, v16, v26 dst_sel:DWORD dst_unused:UNUSED_PAD src0_sel:BYTE_0 src1_sel:DWORD
	v_mov_b32_e32 v26, 2
	v_lshlrev_b32_e32 v14, 2, v10
	v_lshlrev_b32_sdwa v16, v26, v16 dst_sel:DWORD dst_unused:UNUSED_PAD src0_sel:DWORD src1_sel:BYTE_0
	s_clause 0x1
	global_load_dwordx4 v[10:13], v14, s[8:9] offset:68
	global_load_dwordx2 v[14:15], v14, s[8:9] offset:84
	v_add3_u32 v16, 0, v17, v16
	s_waitcnt vmcnt(1)
	v_mul_f16_sdwa v17, v25, v10 dst_sel:DWORD dst_unused:UNUSED_PAD src0_sel:DWORD src1_sel:WORD_1
	s_waitcnt vmcnt(0)
	v_mul_f16_sdwa v26, v23, v15 dst_sel:DWORD dst_unused:UNUSED_PAD src0_sel:DWORD src1_sel:WORD_1
	v_mul_f16_sdwa v27, v21, v13 dst_sel:DWORD dst_unused:UNUSED_PAD src0_sel:DWORD src1_sel:WORD_1
	;; [unrolled: 1-line block ×11, first 2 shown]
	v_fmac_f16_e32 v17, v7, v10
	v_fmac_f16_e32 v26, v1, v15
	;; [unrolled: 1-line block ×6, first 2 shown]
	v_fma_f16 v1, v23, v15, -v31
	v_fma_f16 v4, v25, v10, -v32
	;; [unrolled: 1-line block ×6, first 2 shown]
	v_sub_f16_e32 v10, v17, v26
	v_add_f16_e32 v13, v4, v1
	v_add_f16_e32 v15, v9, v8
	v_add_f16_e32 v17, v17, v26
	v_add_f16_e32 v20, v29, v30
	v_sub_f16_e32 v11, v27, v28
	v_sub_f16_e32 v12, v29, v30
	v_add_f16_e32 v14, v5, v7
	v_add_f16_e32 v19, v28, v27
	v_sub_f16_e32 v1, v4, v1
	v_sub_f16_e32 v4, v7, v5
	;; [unrolled: 1-line block ×3, first 2 shown]
	v_add_f16_e32 v23, v15, v13
	v_add_f16_e32 v26, v20, v17
	v_sub_f16_e32 v7, v10, v11
	v_sub_f16_e32 v8, v11, v12
	v_add_f16_e32 v9, v11, v12
	v_sub_f16_e32 v11, v13, v14
	v_sub_f16_e32 v21, v14, v15
	;; [unrolled: 1-line block ×6, first 2 shown]
	v_add_f16_e32 v4, v4, v5
	v_sub_f16_e32 v12, v12, v10
	v_sub_f16_e32 v5, v5, v1
	v_add_f16_e32 v14, v14, v23
	v_add_f16_e32 v19, v19, v26
	v_sub_f16_e32 v13, v15, v13
	v_sub_f16_e32 v15, v20, v17
	v_mul_f16_e32 v8, 0x3846, v8
	v_add_f16_e32 v9, v9, v10
	v_mul_f16_e32 v10, 0x3a52, v11
	v_mul_f16_e32 v11, 0x2b26, v21
	;; [unrolled: 1-line block ×4, first 2 shown]
	v_add_f16_e32 v1, v4, v1
	v_mul_f16_e32 v4, 0xbb00, v12
	v_mul_f16_e32 v24, 0xbb00, v5
	v_add_f16_e32 v18, v18, v14
	v_add_f16_e32 v6, v6, v19
	v_mul_f16_e32 v20, 0x2b26, v25
	v_fmamk_f16 v26, v7, 0xb574, v8
	v_fmamk_f16 v21, v21, 0x2b26, v10
	;; [unrolled: 1-line block ×4, first 2 shown]
	v_fma_f16 v4, v7, 0x3574, -v4
	v_fma_f16 v7, v13, 0xb9e0, -v10
	v_fma_f16 v10, v15, 0xb9e0, -v17
	v_fma_f16 v17, v27, 0x3574, -v24
	v_fma_f16 v11, v13, 0x39e0, -v11
	v_fma_f16 v8, v12, 0xbb00, -v8
	v_fma_f16 v5, v5, 0xbb00, -v23
	v_fmamk_f16 v13, v14, 0xbcab, v18
	v_fmamk_f16 v14, v19, 0xbcab, v6
	v_fma_f16 v12, v15, 0x39e0, -v20
	v_fmac_f16_e32 v26, 0xb70e, v9
	v_fmac_f16_e32 v28, 0xb70e, v1
	;; [unrolled: 1-line block ×6, first 2 shown]
	v_pack_b32_f16 v1, v6, v18
	v_add_f16_e32 v6, v21, v13
	v_add_f16_e32 v9, v25, v14
	;; [unrolled: 1-line block ×8, first 2 shown]
	v_sub_f16_e32 v4, v7, v4
	v_sub_f16_e32 v6, v6, v26
	v_add_f16_e32 v7, v28, v9
	v_sub_f16_e32 v14, v9, v28
	v_sub_f16_e32 v18, v11, v8
	v_add_f16_e32 v8, v8, v11
	v_add_f16_e32 v9, v17, v10
	v_sub_f16_e32 v11, v12, v5
	v_add_f16_e32 v5, v5, v12
	v_sub_f16_e32 v10, v10, v17
	v_pack_b32_f16 v6, v7, v6
	v_pack_b32_f16 v4, v9, v4
	;; [unrolled: 1-line block ×6, first 2 shown]
	ds_write2_b32 v16, v1, v6 offset1:34
	ds_write2_b32 v16, v4, v7 offset0:68 offset1:102
	ds_write2_b32 v16, v5, v8 offset0:136 offset1:170
	ds_write_b32 v16, v9 offset:816
.LBB0_17:
	s_or_b32 exec_lo, exec_lo, s1
	v_mul_u32_u24_e32 v1, 5, v0
	s_waitcnt lgkmcnt(0)
	s_barrier
	buffer_gl0_inv
	v_add_nc_u32_e32 v26, 0x200, v22
	v_lshlrev_b32_e32 v1, 2, v1
	v_add_nc_u32_e32 v27, 0x600, v22
	v_add_nc_u32_e32 v28, 0xa00, v22
	;; [unrolled: 1-line block ×4, first 2 shown]
	s_clause 0x1
	global_load_dwordx4 v[4:7], v1, s[8:9] offset:884
	global_load_dword v25, v1, s[8:9] offset:900
	v_add_co_u32 v1, s0, s8, v1
	v_add_co_ci_u32_e64 v8, null, s9, 0, s0
	s_add_u32 s1, s8, 0x160c
	v_add_co_u32 v12, s0, 0x94c, v1
	v_add_co_ci_u32_e64 v13, s0, 0, v8, s0
	s_addc_u32 s4, s9, 0
	s_mov_b32 s5, exec_lo
	s_clause 0x1
	global_load_dwordx4 v[8:11], v[12:13], off offset:884
	global_load_dword v1, v[12:13], off offset:900
	ds_read2_b32 v[12:13], v22 offset1:119
	ds_read2_b32 v[14:15], v26 offset0:110 offset1:229
	ds_read2_b32 v[16:17], v27 offset0:92 offset1:211
	;; [unrolled: 1-line block ×5, first 2 shown]
	s_waitcnt vmcnt(0) lgkmcnt(0)
	s_barrier
	buffer_gl0_inv
	v_lshrrev_b32_e32 v38, 16, v14
	v_lshrrev_b32_e32 v39, 16, v16
	;; [unrolled: 1-line block ×12, first 2 shown]
	v_mul_f16_sdwa v43, v4, v38 dst_sel:DWORD dst_unused:UNUSED_PAD src0_sel:WORD_1 src1_sel:DWORD
	v_mul_f16_sdwa v44, v4, v14 dst_sel:DWORD dst_unused:UNUSED_PAD src0_sel:WORD_1 src1_sel:DWORD
	;; [unrolled: 1-line block ×10, first 2 shown]
	v_fmac_f16_e32 v43, v4, v14
	v_fma_f16 v4, v4, v38, -v44
	v_fmac_f16_e32 v47, v6, v18
	v_fma_f16 v6, v6, v40, -v48
	v_fma_f16 v14, v25, v42, -v52
	v_fmac_f16_e32 v45, v5, v16
	v_fma_f16 v5, v5, v39, -v46
	v_fmac_f16_e32 v49, v7, v20
	;; [unrolled: 2-line block ×3, first 2 shown]
	v_mul_f16_sdwa v16, v33, v8 dst_sel:DWORD dst_unused:UNUSED_PAD src0_sel:DWORD src1_sel:WORD_1
	v_mul_f16_sdwa v18, v15, v8 dst_sel:DWORD dst_unused:UNUSED_PAD src0_sel:DWORD src1_sel:WORD_1
	;; [unrolled: 1-line block ×10, first 2 shown]
	v_sub_f16_e32 v54, v6, v14
	v_add_f16_e32 v55, v4, v6
	v_add_f16_e32 v6, v6, v14
	;; [unrolled: 1-line block ×3, first 2 shown]
	v_sub_f16_e32 v48, v5, v7
	v_add_f16_e32 v50, v31, v5
	v_add_f16_e32 v5, v5, v7
	;; [unrolled: 1-line block ×4, first 2 shown]
	v_sub_f16_e32 v47, v47, v51
	v_fmac_f16_e32 v16, v15, v8
	v_fma_f16 v8, v33, v8, -v18
	v_fmac_f16_e32 v20, v17, v9
	v_fma_f16 v9, v34, v9, -v23
	;; [unrolled: 2-line block ×5, first 2 shown]
	v_fmac_f16_e32 v4, -0.5, v6
	v_add_f16_e32 v15, v44, v49
	v_add_f16_e32 v7, v50, v7
	v_fmac_f16_e32 v31, -0.5, v5
	v_add_f16_e32 v5, v52, v51
	v_fmac_f16_e32 v43, -0.5, v53
	v_add_f16_e32 v14, v55, v14
	v_fmamk_f16 v19, v47, 0x3aee, v4
	v_sub_f16_e32 v24, v9, v11
	v_add_f16_e32 v33, v32, v9
	v_add_f16_e32 v9, v9, v11
	v_sub_f16_e32 v36, v10, v1
	v_add_f16_e32 v37, v8, v10
	v_add_f16_e32 v10, v10, v1
	v_fmac_f16_e32 v4, 0xbaee, v47
	v_add_f16_e32 v46, v45, v49
	v_sub_f16_e32 v45, v45, v49
	v_fmamk_f16 v18, v54, 0xbaee, v43
	v_add_f16_e32 v21, v15, v5
	v_add_f16_e32 v23, v7, v14
	v_sub_f16_e32 v5, v15, v5
	v_sub_f16_e32 v7, v7, v14
	v_add_f16_e32 v14, v13, v20
	v_add_f16_e32 v15, v20, v39
	v_sub_f16_e32 v20, v20, v39
	v_add_f16_e32 v34, v16, v25
	v_add_f16_e32 v35, v25, v41
	v_sub_f16_e32 v25, v25, v41
	v_mul_f16_e32 v38, 0xbaee, v19
	v_mul_f16_e32 v19, 0.5, v19
	v_fmac_f16_e32 v32, -0.5, v9
	v_fmac_f16_e32 v8, -0.5, v10
	v_fmac_f16_e32 v43, 0x3aee, v54
	v_mul_f16_e32 v40, 0xbaee, v4
	v_mul_f16_e32 v4, -0.5, v4
	v_fma_f16 v12, -0.5, v46, v12
	v_fmamk_f16 v17, v45, 0x3aee, v31
	v_fmac_f16_e32 v13, -0.5, v15
	v_fmac_f16_e32 v16, -0.5, v35
	v_fmac_f16_e32 v19, 0x3aee, v18
	v_fmamk_f16 v15, v20, 0x3aee, v32
	v_fmac_f16_e32 v32, 0xbaee, v20
	v_fmamk_f16 v20, v25, 0x3aee, v8
	v_fmac_f16_e32 v31, 0xbaee, v45
	v_fmac_f16_e32 v4, 0x3aee, v43
	;; [unrolled: 1-line block ×3, first 2 shown]
	v_fmamk_f16 v6, v48, 0xbaee, v12
	v_fmac_f16_e32 v12, 0x3aee, v48
	v_add_f16_e32 v14, v14, v39
	v_add_f16_e32 v11, v33, v11
	;; [unrolled: 1-line block ×4, first 2 shown]
	v_pack_b32_f16 v5, v5, v7
	v_fmac_f16_e32 v38, 0.5, v18
	v_fmac_f16_e32 v40, -0.5, v43
	v_fmamk_f16 v7, v24, 0xbaee, v13
	v_fmac_f16_e32 v13, 0x3aee, v24
	v_fmamk_f16 v18, v36, 0xbaee, v16
	v_add_f16_e32 v24, v17, v19
	v_sub_f16_e32 v17, v17, v19
	v_mul_f16_e32 v19, 0xbaee, v20
	v_mul_f16_e32 v20, 0.5, v20
	v_fmac_f16_e32 v16, 0x3aee, v36
	v_add_f16_e32 v25, v31, v4
	v_sub_f16_e32 v4, v31, v4
	v_mul_f16_e32 v31, 0xbaee, v8
	v_mul_f16_e32 v8, -0.5, v8
	v_pack_b32_f16 v10, v21, v23
	v_add_f16_e32 v21, v14, v9
	v_add_f16_e32 v23, v11, v1
	v_sub_f16_e32 v9, v14, v9
	v_add_f16_e32 v14, v12, v40
	v_sub_f16_e32 v12, v12, v40
	v_fmac_f16_e32 v19, 0.5, v18
	v_fmac_f16_e32 v20, 0x3aee, v18
	v_sub_f16_e32 v1, v11, v1
	v_add_f16_e32 v11, v6, v38
	v_sub_f16_e32 v6, v6, v38
	v_fmac_f16_e32 v31, -0.5, v16
	v_fmac_f16_e32 v8, 0x3aee, v16
	v_pack_b32_f16 v21, v21, v23
	v_pack_b32_f16 v4, v12, v4
	v_add_f16_e32 v12, v7, v19
	v_add_f16_e32 v16, v15, v20
	v_pack_b32_f16 v1, v9, v1
	v_pack_b32_f16 v9, v11, v24
	;; [unrolled: 1-line block ×4, first 2 shown]
	v_add_f16_e32 v14, v13, v31
	v_add_f16_e32 v17, v32, v8
	v_sub_f16_e32 v7, v7, v19
	v_sub_f16_e32 v15, v15, v20
	;; [unrolled: 1-line block ×4, first 2 shown]
	ds_write2_b32 v22, v10, v21 offset1:119
	v_pack_b32_f16 v10, v12, v16
	v_pack_b32_f16 v12, v14, v17
	v_pack_b32_f16 v7, v7, v15
	v_pack_b32_f16 v8, v13, v8
	ds_write2_b32 v28, v5, v1 offset0:74 offset1:193
	ds_write2_b32 v26, v9, v10 offset0:110 offset1:229
	ds_write2_b32 v27, v11, v12 offset0:92 offset1:211
	ds_write2_b32 v29, v6, v7 offset0:56 offset1:175
	ds_write2_b32 v30, v4, v8 offset0:38 offset1:157
	s_waitcnt lgkmcnt(0)
	s_barrier
	buffer_gl0_inv
	ds_read_b32 v10, v22
	v_lshlrev_b32_e32 v4, 2, v0
	v_mov_b32_e32 v1, 0
                                        ; implicit-def: $vgpr9
                                        ; implicit-def: $vgpr8
                                        ; implicit-def: $vgpr7
	v_sub_nc_u32_e32 v6, 0, v4
                                        ; implicit-def: $vgpr4_vgpr5
	v_cmpx_ne_u32_e32 0, v0
	s_xor_b32 s5, exec_lo, s5
	s_cbranch_execz .LBB0_19
; %bb.18:
	v_lshlrev_b64 v[4:5], 2, v[0:1]
	v_add_co_u32 v4, s0, s1, v4
	v_add_co_ci_u32_e64 v5, s0, s4, v5, s0
	global_load_dword v4, v[4:5], off
	ds_read_b32 v5, v6 offset:5712
	s_waitcnt lgkmcnt(0)
	v_pk_add_f16 v7, v10, v5 neg_lo:[0,1] neg_hi:[0,1]
	v_pk_add_f16 v5, v5, v10
                                        ; implicit-def: $vgpr10
	v_bfi_b32 v8, 0xffff, v7, v5
	v_bfi_b32 v5, 0xffff, v5, v7
	v_pk_mul_f16 v8, v8, 0.5 op_sel_hi:[1,0]
	v_pk_mul_f16 v9, v5, 0.5 op_sel_hi:[1,0]
	s_waitcnt vmcnt(0)
	v_pk_mul_f16 v7, v4, v8 op_sel:[1,0]
	v_pk_mul_f16 v4, v4, v8 op_sel_hi:[0,1]
	v_pk_fma_f16 v5, v5, 0.5, v7 op_sel_hi:[1,0,1]
	v_sub_f16_e32 v8, v9, v7
	v_sub_f16_sdwa v7, v7, v9 dst_sel:DWORD dst_unused:UNUSED_PAD src0_sel:WORD_1 src1_sel:WORD_1
	v_pk_add_f16 v9, v5, v4 op_sel:[0,1] op_sel_hi:[1,0]
	v_pk_add_f16 v5, v5, v4 op_sel:[0,1] op_sel_hi:[1,0] neg_lo:[0,1] neg_hi:[0,1]
	v_sub_f16_sdwa v8, v8, v4 dst_sel:DWORD dst_unused:UNUSED_PAD src0_sel:DWORD src1_sel:WORD_1
	v_sub_f16_e32 v7, v7, v4
	v_bfi_b32 v9, 0xffff, v9, v5
	v_mov_b32_e32 v5, v1
	v_mov_b32_e32 v4, v0
.LBB0_19:
	s_andn2_saveexec_b32 s0, s5
	s_cbranch_execz .LBB0_21
; %bb.20:
	v_mov_b32_e32 v7, 0
	s_waitcnt lgkmcnt(0)
	v_alignbit_b32 v4, s0, v10, 16
	v_sub_f16_sdwa v8, v10, v10 dst_sel:DWORD dst_unused:UNUSED_PAD src0_sel:DWORD src1_sel:WORD_1
	ds_read_u16 v1, v7 offset:2858
	v_pk_add_f16 v9, v4, v10
	v_mov_b32_e32 v4, 0
	v_mov_b32_e32 v5, 0
	v_pack_b32_f16 v9, v9, 0
	s_waitcnt lgkmcnt(0)
	v_xor_b32_e32 v1, 0x8000, v1
	ds_write_b16 v7, v1 offset:2858
.LBB0_21:
	s_or_b32 exec_lo, exec_lo, s0
	v_lshlrev_b64 v[4:5], 2, v[4:5]
	s_waitcnt lgkmcnt(0)
	v_add_co_u32 v10, s0, s1, v4
	v_add_co_ci_u32_e64 v11, s0, s4, v5, s0
	s_clause 0x3
	global_load_dword v1, v[10:11], off offset:476
	global_load_dword v12, v[10:11], off offset:952
	;; [unrolled: 1-line block ×4, first 2 shown]
	v_add_co_u32 v10, s0, 0x800, v10
	v_add_co_ci_u32_e64 v11, s0, 0, v11, s0
	global_load_dword v10, v[10:11], off offset:332
	ds_write_b16 v6, v7 offset:5714
	ds_write_b32 v22, v9
	ds_write_b16 v6, v8 offset:5712
	ds_read_b32 v7, v22 offset:476
	ds_read_b32 v8, v6 offset:5236
	s_waitcnt lgkmcnt(0)
	v_pk_add_f16 v9, v7, v8 neg_lo:[0,1] neg_hi:[0,1]
	v_pk_add_f16 v7, v7, v8
	v_bfi_b32 v8, 0xffff, v9, v7
	v_bfi_b32 v7, 0xffff, v7, v9
	v_pk_mul_f16 v8, v8, 0.5 op_sel_hi:[1,0]
	v_pk_mul_f16 v11, v7, 0.5 op_sel_hi:[1,0]
	s_waitcnt vmcnt(4)
	v_pk_mul_f16 v9, v1, v8 op_sel:[1,0]
	v_pk_mul_f16 v1, v1, v8 op_sel_hi:[0,1]
	v_pk_fma_f16 v7, v7, 0.5, v9 op_sel_hi:[1,0,1]
	v_sub_f16_sdwa v8, v9, v11 dst_sel:DWORD dst_unused:UNUSED_PAD src0_sel:WORD_1 src1_sel:WORD_1
	v_sub_f16_e32 v9, v11, v9
	v_pk_add_f16 v15, v7, v1 op_sel:[0,1] op_sel_hi:[1,0]
	v_pk_add_f16 v7, v7, v1 op_sel:[0,1] op_sel_hi:[1,0] neg_lo:[0,1] neg_hi:[0,1]
	v_sub_f16_e32 v8, v8, v1
	v_sub_f16_sdwa v1, v9, v1 dst_sel:DWORD dst_unused:UNUSED_PAD src0_sel:DWORD src1_sel:WORD_1
	v_bfi_b32 v7, 0xffff, v15, v7
	ds_write_b16 v6, v8 offset:5238
	ds_write_b32 v22, v7 offset:476
	ds_write_b16 v6, v1 offset:5236
	ds_read_b32 v1, v22 offset:952
	ds_read_b32 v7, v6 offset:4760
	s_waitcnt lgkmcnt(0)
	v_pk_add_f16 v8, v1, v7 neg_lo:[0,1] neg_hi:[0,1]
	v_pk_add_f16 v1, v1, v7
	v_bfi_b32 v7, 0xffff, v8, v1
	v_bfi_b32 v1, 0xffff, v1, v8
	v_pk_mul_f16 v7, v7, 0.5 op_sel_hi:[1,0]
	v_pk_mul_f16 v9, v1, 0.5 op_sel_hi:[1,0]
	s_waitcnt vmcnt(3)
	v_pk_mul_f16 v8, v12, v7 op_sel:[1,0]
	v_pk_mul_f16 v7, v12, v7 op_sel_hi:[0,1]
	v_pk_fma_f16 v1, v1, 0.5, v8 op_sel_hi:[1,0,1]
	v_sub_f16_sdwa v11, v8, v9 dst_sel:DWORD dst_unused:UNUSED_PAD src0_sel:WORD_1 src1_sel:WORD_1
	v_sub_f16_e32 v8, v9, v8
	v_pk_add_f16 v12, v1, v7 op_sel:[0,1] op_sel_hi:[1,0]
	v_pk_add_f16 v1, v1, v7 op_sel:[0,1] op_sel_hi:[1,0] neg_lo:[0,1] neg_hi:[0,1]
	v_sub_f16_e32 v9, v11, v7
	v_sub_f16_sdwa v7, v8, v7 dst_sel:DWORD dst_unused:UNUSED_PAD src0_sel:DWORD src1_sel:WORD_1
	v_bfi_b32 v1, 0xffff, v12, v1
	ds_write_b16 v6, v9 offset:4762
	ds_write_b32 v22, v1 offset:952
	ds_write_b16 v6, v7 offset:4760
	ds_read_b32 v1, v22 offset:1428
	ds_read_b32 v7, v6 offset:4284
	s_waitcnt lgkmcnt(0)
	v_pk_add_f16 v8, v1, v7 neg_lo:[0,1] neg_hi:[0,1]
	v_pk_add_f16 v1, v1, v7
	v_bfi_b32 v7, 0xffff, v8, v1
	v_bfi_b32 v1, 0xffff, v1, v8
	v_pk_mul_f16 v7, v7, 0.5 op_sel_hi:[1,0]
	v_pk_mul_f16 v1, v1, 0.5 op_sel_hi:[1,0]
	s_waitcnt vmcnt(2)
	v_pk_mul_f16 v9, v13, v7 op_sel_hi:[0,1]
	v_pk_fma_f16 v8, v13, v7, v1 op_sel:[1,0,0]
	v_pk_fma_f16 v11, v13, v7, v1 op_sel:[1,0,0] neg_lo:[1,0,0] neg_hi:[1,0,0]
	v_pk_fma_f16 v1, v13, v7, v1 op_sel:[1,0,0] neg_lo:[0,0,1] neg_hi:[0,0,1]
	v_pk_add_f16 v7, v8, v9 op_sel:[0,1] op_sel_hi:[1,0]
	v_pk_add_f16 v8, v8, v9 op_sel:[0,1] op_sel_hi:[1,0] neg_lo:[0,1] neg_hi:[0,1]
	v_pk_add_f16 v11, v11, v9 op_sel:[0,1] op_sel_hi:[1,0] neg_lo:[0,1] neg_hi:[0,1]
	;; [unrolled: 1-line block ×3, first 2 shown]
	v_bfi_b32 v7, 0xffff, v7, v8
	v_bfi_b32 v1, 0xffff, v11, v1
	ds_write_b32 v22, v7 offset:1428
	ds_write_b32 v6, v1 offset:4284
	ds_read_b32 v1, v22 offset:1904
	ds_read_b32 v7, v6 offset:3808
	s_waitcnt lgkmcnt(0)
	v_pk_add_f16 v8, v1, v7 neg_lo:[0,1] neg_hi:[0,1]
	v_pk_add_f16 v1, v1, v7
	v_bfi_b32 v7, 0xffff, v8, v1
	v_bfi_b32 v1, 0xffff, v1, v8
	v_pk_mul_f16 v7, v7, 0.5 op_sel_hi:[1,0]
	v_pk_mul_f16 v9, v1, 0.5 op_sel_hi:[1,0]
	s_waitcnt vmcnt(1)
	v_pk_mul_f16 v8, v14, v7 op_sel:[1,0]
	v_pk_mul_f16 v7, v14, v7 op_sel_hi:[0,1]
	v_pk_fma_f16 v1, v1, 0.5, v8 op_sel_hi:[1,0,1]
	v_sub_f16_sdwa v11, v8, v9 dst_sel:DWORD dst_unused:UNUSED_PAD src0_sel:WORD_1 src1_sel:WORD_1
	v_sub_f16_e32 v8, v9, v8
	v_pk_add_f16 v12, v1, v7 op_sel:[0,1] op_sel_hi:[1,0]
	v_pk_add_f16 v1, v1, v7 op_sel:[0,1] op_sel_hi:[1,0] neg_lo:[0,1] neg_hi:[0,1]
	v_sub_f16_e32 v9, v11, v7
	v_sub_f16_sdwa v7, v8, v7 dst_sel:DWORD dst_unused:UNUSED_PAD src0_sel:DWORD src1_sel:WORD_1
	v_bfi_b32 v1, 0xffff, v12, v1
	ds_write_b16 v6, v9 offset:3810
	ds_write_b32 v22, v1 offset:1904
	ds_write_b16 v6, v7 offset:3808
	ds_read_b32 v1, v22 offset:2380
	ds_read_b32 v7, v6 offset:3332
	s_waitcnt lgkmcnt(0)
	v_pk_add_f16 v8, v1, v7 neg_lo:[0,1] neg_hi:[0,1]
	v_pk_add_f16 v1, v1, v7
	v_bfi_b32 v7, 0xffff, v8, v1
	v_bfi_b32 v1, 0xffff, v1, v8
	v_pk_mul_f16 v7, v7, 0.5 op_sel_hi:[1,0]
	v_pk_mul_f16 v1, v1, 0.5 op_sel_hi:[1,0]
	s_waitcnt vmcnt(0)
	v_pk_mul_f16 v9, v10, v7 op_sel_hi:[0,1]
	v_pk_fma_f16 v8, v10, v7, v1 op_sel:[1,0,0]
	v_pk_fma_f16 v11, v10, v7, v1 op_sel:[1,0,0] neg_lo:[1,0,0] neg_hi:[1,0,0]
	v_pk_fma_f16 v1, v10, v7, v1 op_sel:[1,0,0] neg_lo:[0,0,1] neg_hi:[0,0,1]
	v_pk_add_f16 v7, v8, v9 op_sel:[0,1] op_sel_hi:[1,0]
	v_pk_add_f16 v8, v8, v9 op_sel:[0,1] op_sel_hi:[1,0] neg_lo:[0,1] neg_hi:[0,1]
	v_pk_add_f16 v10, v11, v9 op_sel:[0,1] op_sel_hi:[1,0] neg_lo:[0,1] neg_hi:[0,1]
	;; [unrolled: 1-line block ×3, first 2 shown]
	v_bfi_b32 v7, 0xffff, v7, v8
	v_bfi_b32 v1, 0xffff, v10, v1
	ds_write_b32 v22, v7 offset:2380
	ds_write_b32 v6, v1 offset:3332
	s_waitcnt lgkmcnt(0)
	s_barrier
	buffer_gl0_inv
	s_and_saveexec_b32 s0, vcc_lo
	s_cbranch_execz .LBB0_24
; %bb.22:
	v_add_nc_u32_e32 v1, 0x200, v22
	v_add_nc_u32_e32 v10, 0x600, v22
	ds_read2_b32 v[6:7], v22 offset1:119
	v_add_nc_u32_e32 v12, 0xa00, v22
	v_add_nc_u32_e32 v14, 0xe00, v22
	ds_read2_b32 v[8:9], v1 offset0:110 offset1:229
	ds_read2_b32 v[10:11], v10 offset0:92 offset1:211
	v_add_nc_u32_e32 v16, 0x1200, v22
	v_add_co_u32 v1, vcc_lo, s2, v2
	ds_read2_b32 v[12:13], v12 offset0:74 offset1:193
	ds_read2_b32 v[14:15], v14 offset0:56 offset1:175
	v_add_co_ci_u32_e32 v2, vcc_lo, s3, v3, vcc_lo
	ds_read2_b32 v[16:17], v16 offset0:38 offset1:157
	v_add_co_u32 v3, vcc_lo, v1, v4
	v_add_co_ci_u32_e32 v4, vcc_lo, v2, v5, vcc_lo
	v_add_co_u32 v18, vcc_lo, 0x800, v3
	v_add_co_ci_u32_e32 v19, vcc_lo, 0, v4, vcc_lo
	s_waitcnt lgkmcnt(5)
	global_store_dword v[3:4], v6, off
	global_store_dword v[3:4], v7, off offset:476
	s_waitcnt lgkmcnt(4)
	global_store_dword v[3:4], v8, off offset:952
	global_store_dword v[3:4], v9, off offset:1428
	s_waitcnt lgkmcnt(3)
	global_store_dword v[3:4], v10, off offset:1904
	global_store_dword v[18:19], v11, off offset:332
	v_add_co_u32 v3, vcc_lo, 0x1000, v3
	v_add_co_ci_u32_e32 v4, vcc_lo, 0, v4, vcc_lo
	v_cmp_eq_u32_e32 vcc_lo, 0x76, v0
	s_waitcnt lgkmcnt(2)
	global_store_dword v[18:19], v12, off offset:808
	global_store_dword v[18:19], v13, off offset:1284
	s_waitcnt lgkmcnt(1)
	global_store_dword v[18:19], v14, off offset:1760
	global_store_dword v[3:4], v15, off offset:188
	;; [unrolled: 3-line block ×3, first 2 shown]
	s_and_b32 exec_lo, exec_lo, vcc_lo
	s_cbranch_execz .LBB0_24
; %bb.23:
	v_mov_b32_e32 v0, 0
	ds_read_b32 v3, v0 offset:5712
	v_add_co_u32 v0, vcc_lo, 0x1000, v1
	v_add_co_ci_u32_e32 v1, vcc_lo, 0, v2, vcc_lo
	s_waitcnt lgkmcnt(0)
	global_store_dword v[0:1], v3, off offset:1616
.LBB0_24:
	s_endpgm
	.section	.rodata,"a",@progbits
	.p2align	6, 0x0
	.amdhsa_kernel fft_rtc_back_len1428_factors_17_2_7_6_wgs_119_tpt_119_halfLds_half_ip_CI_unitstride_sbrr_R2C_dirReg
		.amdhsa_group_segment_fixed_size 0
		.amdhsa_private_segment_fixed_size 0
		.amdhsa_kernarg_size 88
		.amdhsa_user_sgpr_count 6
		.amdhsa_user_sgpr_private_segment_buffer 1
		.amdhsa_user_sgpr_dispatch_ptr 0
		.amdhsa_user_sgpr_queue_ptr 0
		.amdhsa_user_sgpr_kernarg_segment_ptr 1
		.amdhsa_user_sgpr_dispatch_id 0
		.amdhsa_user_sgpr_flat_scratch_init 0
		.amdhsa_user_sgpr_private_segment_size 0
		.amdhsa_wavefront_size32 1
		.amdhsa_uses_dynamic_stack 0
		.amdhsa_system_sgpr_private_segment_wavefront_offset 0
		.amdhsa_system_sgpr_workgroup_id_x 1
		.amdhsa_system_sgpr_workgroup_id_y 0
		.amdhsa_system_sgpr_workgroup_id_z 0
		.amdhsa_system_sgpr_workgroup_info 0
		.amdhsa_system_vgpr_workitem_id 0
		.amdhsa_next_free_vgpr 134
		.amdhsa_next_free_sgpr 21
		.amdhsa_reserve_vcc 1
		.amdhsa_reserve_flat_scratch 0
		.amdhsa_float_round_mode_32 0
		.amdhsa_float_round_mode_16_64 0
		.amdhsa_float_denorm_mode_32 3
		.amdhsa_float_denorm_mode_16_64 3
		.amdhsa_dx10_clamp 1
		.amdhsa_ieee_mode 1
		.amdhsa_fp16_overflow 0
		.amdhsa_workgroup_processor_mode 1
		.amdhsa_memory_ordered 1
		.amdhsa_forward_progress 0
		.amdhsa_shared_vgpr_count 0
		.amdhsa_exception_fp_ieee_invalid_op 0
		.amdhsa_exception_fp_denorm_src 0
		.amdhsa_exception_fp_ieee_div_zero 0
		.amdhsa_exception_fp_ieee_overflow 0
		.amdhsa_exception_fp_ieee_underflow 0
		.amdhsa_exception_fp_ieee_inexact 0
		.amdhsa_exception_int_div_zero 0
	.end_amdhsa_kernel
	.text
.Lfunc_end0:
	.size	fft_rtc_back_len1428_factors_17_2_7_6_wgs_119_tpt_119_halfLds_half_ip_CI_unitstride_sbrr_R2C_dirReg, .Lfunc_end0-fft_rtc_back_len1428_factors_17_2_7_6_wgs_119_tpt_119_halfLds_half_ip_CI_unitstride_sbrr_R2C_dirReg
                                        ; -- End function
	.section	.AMDGPU.csdata,"",@progbits
; Kernel info:
; codeLenInByte = 12612
; NumSgprs: 23
; NumVgprs: 134
; ScratchSize: 0
; MemoryBound: 0
; FloatMode: 240
; IeeeMode: 1
; LDSByteSize: 0 bytes/workgroup (compile time only)
; SGPRBlocks: 2
; VGPRBlocks: 16
; NumSGPRsForWavesPerEU: 23
; NumVGPRsForWavesPerEU: 134
; Occupancy: 7
; WaveLimiterHint : 1
; COMPUTE_PGM_RSRC2:SCRATCH_EN: 0
; COMPUTE_PGM_RSRC2:USER_SGPR: 6
; COMPUTE_PGM_RSRC2:TRAP_HANDLER: 0
; COMPUTE_PGM_RSRC2:TGID_X_EN: 1
; COMPUTE_PGM_RSRC2:TGID_Y_EN: 0
; COMPUTE_PGM_RSRC2:TGID_Z_EN: 0
; COMPUTE_PGM_RSRC2:TIDIG_COMP_CNT: 0
	.text
	.p2alignl 6, 3214868480
	.fill 48, 4, 3214868480
	.type	__hip_cuid_15e08d3c6e3632a6,@object ; @__hip_cuid_15e08d3c6e3632a6
	.section	.bss,"aw",@nobits
	.globl	__hip_cuid_15e08d3c6e3632a6
__hip_cuid_15e08d3c6e3632a6:
	.byte	0                               ; 0x0
	.size	__hip_cuid_15e08d3c6e3632a6, 1

	.ident	"AMD clang version 19.0.0git (https://github.com/RadeonOpenCompute/llvm-project roc-6.4.0 25133 c7fe45cf4b819c5991fe208aaa96edf142730f1d)"
	.section	".note.GNU-stack","",@progbits
	.addrsig
	.addrsig_sym __hip_cuid_15e08d3c6e3632a6
	.amdgpu_metadata
---
amdhsa.kernels:
  - .args:
      - .actual_access:  read_only
        .address_space:  global
        .offset:         0
        .size:           8
        .value_kind:     global_buffer
      - .offset:         8
        .size:           8
        .value_kind:     by_value
      - .actual_access:  read_only
        .address_space:  global
        .offset:         16
        .size:           8
        .value_kind:     global_buffer
      - .actual_access:  read_only
        .address_space:  global
        .offset:         24
        .size:           8
        .value_kind:     global_buffer
      - .offset:         32
        .size:           8
        .value_kind:     by_value
      - .actual_access:  read_only
        .address_space:  global
        .offset:         40
        .size:           8
        .value_kind:     global_buffer
      - .actual_access:  read_only
        .address_space:  global
        .offset:         48
        .size:           8
        .value_kind:     global_buffer
      - .offset:         56
        .size:           4
        .value_kind:     by_value
      - .actual_access:  read_only
        .address_space:  global
        .offset:         64
        .size:           8
        .value_kind:     global_buffer
      - .actual_access:  read_only
        .address_space:  global
        .offset:         72
        .size:           8
        .value_kind:     global_buffer
      - .address_space:  global
        .offset:         80
        .size:           8
        .value_kind:     global_buffer
    .group_segment_fixed_size: 0
    .kernarg_segment_align: 8
    .kernarg_segment_size: 88
    .language:       OpenCL C
    .language_version:
      - 2
      - 0
    .max_flat_workgroup_size: 119
    .name:           fft_rtc_back_len1428_factors_17_2_7_6_wgs_119_tpt_119_halfLds_half_ip_CI_unitstride_sbrr_R2C_dirReg
    .private_segment_fixed_size: 0
    .sgpr_count:     23
    .sgpr_spill_count: 0
    .symbol:         fft_rtc_back_len1428_factors_17_2_7_6_wgs_119_tpt_119_halfLds_half_ip_CI_unitstride_sbrr_R2C_dirReg.kd
    .uniform_work_group_size: 1
    .uses_dynamic_stack: false
    .vgpr_count:     134
    .vgpr_spill_count: 0
    .wavefront_size: 32
    .workgroup_processor_mode: 1
amdhsa.target:   amdgcn-amd-amdhsa--gfx1030
amdhsa.version:
  - 1
  - 2
...

	.end_amdgpu_metadata
